;; amdgpu-corpus repo=ROCm/rocFFT kind=compiled arch=gfx1100 opt=O3
	.text
	.amdgcn_target "amdgcn-amd-amdhsa--gfx1100"
	.amdhsa_code_object_version 6
	.protected	bluestein_single_back_len1683_dim1_dp_op_CI_CI ; -- Begin function bluestein_single_back_len1683_dim1_dp_op_CI_CI
	.globl	bluestein_single_back_len1683_dim1_dp_op_CI_CI
	.p2align	8
	.type	bluestein_single_back_len1683_dim1_dp_op_CI_CI,@function
bluestein_single_back_len1683_dim1_dp_op_CI_CI: ; @bluestein_single_back_len1683_dim1_dp_op_CI_CI
; %bb.0:
	s_load_b128 s[16:19], s[0:1], 0x28
	v_mul_u32_u24_e32 v1, 0x506, v0
	s_mov_b32 s2, exec_lo
	v_mov_b32_e32 v8, 0
	s_delay_alu instid0(VALU_DEP_2) | instskip(NEXT) | instid1(VALU_DEP_1)
	v_lshrrev_b32_e32 v1, 16, v1
	v_add_nc_u32_e32 v7, s15, v1
	s_waitcnt lgkmcnt(0)
	s_delay_alu instid0(VALU_DEP_1)
	v_cmpx_gt_u64_e64 s[16:17], v[7:8]
	s_cbranch_execz .LBB0_15
; %bb.1:
	s_clause 0x1
	s_load_b128 s[4:7], s[0:1], 0x18
	s_load_b64 s[12:13], s[0:1], 0x0
	v_mul_lo_u16 v1, v1, 51
	v_mov_b32_e32 v5, v7
	s_delay_alu instid0(VALU_DEP_2) | instskip(NEXT) | instid1(VALU_DEP_1)
	v_sub_nc_u16 v2, v0, v1
	v_and_b32_e32 v142, 0xffff, v2
	s_delay_alu instid0(VALU_DEP_1)
	v_lshlrev_b32_e32 v252, 4, v142
	s_waitcnt lgkmcnt(0)
	s_load_b128 s[8:11], s[4:5], 0x0
	s_clause 0x2
	global_load_b128 v[147:150], v252, s[12:13]
	global_load_b128 v[151:154], v252, s[12:13] offset:1584
	global_load_b128 v[143:146], v252, s[12:13] offset:3168
	v_add_co_u32 v10, s2, s12, v252
	s_delay_alu instid0(VALU_DEP_1)
	v_add_co_ci_u32_e64 v11, null, s13, 0, s2
	scratch_store_b64 off, v[5:6], off offset:172 ; 8-byte Folded Spill
	v_add_co_u32 v16, vcc_lo, 0x1000, v10
	scratch_store_b64 off, v[10:11], off offset:148 ; 8-byte Folded Spill
	v_add_co_ci_u32_e32 v17, vcc_lo, 0, v11, vcc_lo
	v_add_co_u32 v14, vcc_lo, 0x2000, v10
	v_add_co_ci_u32_e32 v15, vcc_lo, 0, v11, vcc_lo
	v_add_co_u32 v12, vcc_lo, 0x3000, v10
	v_add_co_ci_u32_e32 v13, vcc_lo, 0, v11, vcc_lo
	s_waitcnt lgkmcnt(0)
	v_mad_u64_u32 v[0:1], null, s10, v7, 0
	v_mad_u64_u32 v[3:4], null, s8, v142, 0
	v_add_co_u32 v8, vcc_lo, 0x4000, v10
	v_add_co_ci_u32_e32 v9, vcc_lo, 0, v11, vcc_lo
	s_delay_alu instid0(VALU_DEP_4) | instskip(SKIP_3) | instid1(VALU_DEP_4)
	v_mad_u64_u32 v[5:6], null, s11, v7, v[1:2]
	v_add_co_u32 v72, vcc_lo, 0x5000, v10
	v_add_co_ci_u32_e32 v73, vcc_lo, 0, v11, vcc_lo
	v_add_co_u32 v70, vcc_lo, 0x6000, v10
	v_mad_u64_u32 v[6:7], null, s9, v142, v[4:5]
	v_mov_b32_e32 v1, v5
	v_add_co_ci_u32_e32 v71, vcc_lo, 0, v11, vcc_lo
	s_mul_i32 s3, s9, 0x63
	s_mul_hi_u32 s4, s8, 0x63
	s_delay_alu instid0(VALU_DEP_2) | instskip(NEXT) | instid1(VALU_DEP_4)
	v_lshlrev_b64 v[0:1], 4, v[0:1]
	v_mov_b32_e32 v4, v6
	s_mul_i32 s2, s8, 0x63
	s_add_i32 s3, s4, s3
	s_clause 0x1
	global_load_b128 v[207:210], v[16:17], off offset:656
	global_load_b128 v[203:206], v[16:17], off offset:2240
	s_lshl_b64 s[14:15], s[2:3], 4
	v_lshlrev_b64 v[6:7], 4, v[3:4]
	v_add_co_u32 v4, vcc_lo, s18, v0
	v_add_co_ci_u32_e32 v5, vcc_lo, s19, v1, vcc_lo
	scratch_store_b64 off, v[16:17], off offset:164 ; 8-byte Folded Spill
	v_add_co_u32 v0, vcc_lo, v4, v6
	v_add_co_ci_u32_e32 v1, vcc_lo, v5, v7, vcc_lo
	s_clause 0x1
	global_load_b128 v[199:202], v[16:17], off offset:3824
	global_load_b128 v[187:190], v[14:15], off offset:1312
	v_add_co_u32 v10, vcc_lo, v0, s14
	v_add_co_ci_u32_e32 v11, vcc_lo, s15, v1, vcc_lo
	scratch_store_b64 off, v[14:15], off offset:156 ; 8-byte Folded Spill
	s_clause 0x1
	global_load_b128 v[183:186], v[14:15], off offset:2896
	global_load_b128 v[175:178], v[12:13], off offset:384
	v_add_co_u32 v14, vcc_lo, v10, s14
	v_add_co_ci_u32_e32 v15, vcc_lo, s15, v11, vcc_lo
	s_clause 0x1
	scratch_store_b64 off, v[12:13], off offset:140
	scratch_store_b64 off, v[8:9], off offset:132
	v_add_co_u32 v18, vcc_lo, v14, s14
	v_add_co_ci_u32_e32 v19, vcc_lo, s15, v15, vcc_lo
	s_clause 0x1
	global_load_b128 v[179:182], v[12:13], off offset:1968
	global_load_b128 v[171:174], v[12:13], off offset:3552
	v_add_co_u32 v22, vcc_lo, v18, s14
	v_add_co_ci_u32_e32 v23, vcc_lo, s15, v19, vcc_lo
	s_clause 0x3
	global_load_b128 v[163:166], v[8:9], off offset:1040
	global_load_b128 v[155:158], v[8:9], off offset:2624
	;; [unrolled: 1-line block ×4, first 2 shown]
	s_clause 0x1
	global_load_b128 v[6:9], v[0:1], off
	global_load_b128 v[10:13], v[10:11], off
	v_add_co_u32 v0, vcc_lo, v22, s14
	v_add_co_ci_u32_e32 v1, vcc_lo, s15, v23, vcc_lo
	s_clause 0x1
	global_load_b128 v[14:17], v[14:15], off
	global_load_b128 v[18:21], v[18:19], off
	v_add_co_u32 v30, vcc_lo, v0, s14
	v_add_co_ci_u32_e32 v31, vcc_lo, s15, v1, vcc_lo
	global_load_b128 v[26:29], v[0:1], off
	v_add_co_u32 v34, vcc_lo, v30, s14
	v_add_co_ci_u32_e32 v35, vcc_lo, s15, v31, vcc_lo
	global_load_b128 v[22:25], v[22:23], off
	v_add_co_u32 v0, vcc_lo, v34, s14
	v_add_co_ci_u32_e32 v1, vcc_lo, s15, v35, vcc_lo
	global_load_b128 v[30:33], v[30:31], off
	v_add_co_u32 v42, vcc_lo, v0, s14
	v_add_co_ci_u32_e32 v43, vcc_lo, s15, v1, vcc_lo
	global_load_b128 v[38:41], v[0:1], off
	v_add_co_u32 v46, vcc_lo, v42, s14
	v_add_co_ci_u32_e32 v47, vcc_lo, s15, v43, vcc_lo
	global_load_b128 v[34:37], v[34:35], off
	v_add_co_u32 v0, vcc_lo, v46, s14
	v_add_co_ci_u32_e32 v1, vcc_lo, s15, v47, vcc_lo
	global_load_b128 v[42:45], v[42:43], off
	v_add_co_u32 v54, vcc_lo, v0, s14
	v_add_co_ci_u32_e32 v55, vcc_lo, s15, v1, vcc_lo
	global_load_b128 v[50:53], v[0:1], off
	v_add_co_u32 v58, vcc_lo, v54, s14
	v_add_co_ci_u32_e32 v59, vcc_lo, s15, v55, vcc_lo
	global_load_b128 v[54:57], v[54:55], off
	v_add_co_u32 v62, vcc_lo, v58, s14
	v_add_co_ci_u32_e32 v63, vcc_lo, s15, v59, vcc_lo
	global_load_b128 v[58:61], v[58:59], off
	v_add_co_u32 v66, vcc_lo, v62, s14
	v_add_co_ci_u32_e32 v67, vcc_lo, s15, v63, vcc_lo
	global_load_b128 v[46:49], v[46:47], off
	v_add_co_u32 v0, vcc_lo, v66, s14
	v_add_co_ci_u32_e32 v1, vcc_lo, s15, v67, vcc_lo
	global_load_b128 v[62:65], v[62:63], off
	global_load_b128 v[66:69], v[66:67], off
	s_clause 0x1
	scratch_store_b64 off, v[72:73], off offset:124
	scratch_store_b64 off, v[70:71], off offset:116
	s_clause 0x1
	global_load_b128 v[191:194], v[72:73], off offset:3280
	global_load_b128 v[195:198], v[70:71], off offset:768
	global_load_b128 v[70:73], v[0:1], off
	v_cmp_gt_u16_e32 vcc_lo, 48, v2
	v_or_b32_e32 v2, 0x600, v142
	s_waitcnt vmcnt(33)
	scratch_store_b128 off, v[147:150], off offset:196 ; 16-byte Folded Spill
	s_waitcnt vmcnt(32)
	scratch_store_b128 off, v[151:154], off offset:212 ; 16-byte Folded Spill
	;; [unrolled: 2-line block ×14, first 2 shown]
	s_waitcnt vmcnt(18)
	v_mul_f64 v[74:75], v[8:9], v[149:150]
	v_mul_f64 v[76:77], v[6:7], v[149:150]
	s_waitcnt vmcnt(17)
	v_mul_f64 v[78:79], v[12:13], v[153:154]
	v_mul_f64 v[80:81], v[10:11], v[153:154]
	;; [unrolled: 3-line block ×4, first 2 shown]
	scratch_store_b128 off, v[167:170], off offset:276 ; 16-byte Folded Spill
	s_waitcnt vmcnt(14)
	v_mul_f64 v[94:95], v[28:29], v[201:202]
	v_mul_f64 v[96:97], v[26:27], v[201:202]
	s_waitcnt vmcnt(13)
	v_mul_f64 v[90:91], v[24:25], v[205:206]
	v_mul_f64 v[92:93], v[22:23], v[205:206]
	;; [unrolled: 3-line block ×6, first 2 shown]
	v_fma_f64 v[6:7], v[6:7], v[147:148], v[74:75]
	v_fma_f64 v[8:9], v[8:9], v[147:148], -v[76:77]
	s_waitcnt vmcnt(8)
	v_mul_f64 v[118:119], v[52:53], v[165:166]
	v_mul_f64 v[120:121], v[50:51], v[165:166]
	v_fma_f64 v[10:11], v[10:11], v[151:152], v[78:79]
	v_fma_f64 v[12:13], v[12:13], v[151:152], -v[80:81]
	v_fma_f64 v[14:15], v[14:15], v[143:144], v[82:83]
	s_waitcnt vmcnt(7)
	v_mul_f64 v[122:123], v[56:57], v[157:158]
	v_mul_f64 v[124:125], v[54:55], v[157:158]
	v_fma_f64 v[16:17], v[16:17], v[143:144], -v[84:85]
	v_fma_f64 v[18:19], v[18:19], v[207:208], v[86:87]
	v_fma_f64 v[20:21], v[20:21], v[207:208], -v[88:89]
	s_waitcnt vmcnt(6)
	v_mul_f64 v[126:127], v[60:61], v[169:170]
	v_mul_f64 v[128:129], v[58:59], v[169:170]
	v_fma_f64 v[26:27], v[26:27], v[199:200], v[94:95]
	v_fma_f64 v[22:23], v[22:23], v[203:204], v[90:91]
	v_fma_f64 v[24:25], v[24:25], v[203:204], -v[92:93]
	s_waitcnt vmcnt(5)
	v_mul_f64 v[114:115], v[48:49], v[173:174]
	v_mul_f64 v[116:117], v[46:47], v[173:174]
	v_fma_f64 v[28:29], v[28:29], v[199:200], -v[96:97]
	v_fma_f64 v[30:31], v[30:31], v[187:188], v[98:99]
	s_waitcnt vmcnt(4)
	v_mul_f64 v[130:131], v[64:65], v[161:162]
	v_mul_f64 v[132:133], v[62:63], v[161:162]
	v_fma_f64 v[32:33], v[32:33], v[187:188], -v[100:101]
	s_waitcnt vmcnt(2)
	v_mul_f64 v[134:135], v[68:69], v[193:194]
	v_mul_f64 v[136:137], v[66:67], v[193:194]
	s_waitcnt vmcnt(0)
	v_mul_f64 v[138:139], v[72:73], v[197:198]
	v_mul_f64 v[140:141], v[70:71], v[197:198]
	v_fma_f64 v[38:39], v[38:39], v[175:176], v[106:107]
	v_fma_f64 v[34:35], v[34:35], v[183:184], v[102:103]
	v_fma_f64 v[36:37], v[36:37], v[183:184], -v[104:105]
	v_fma_f64 v[40:41], v[40:41], v[175:176], -v[108:109]
	s_clause 0x1
	scratch_store_b128 off, v[191:194], off offset:372
	scratch_store_b128 off, v[195:198], off offset:388
	v_fma_f64 v[42:43], v[42:43], v[179:180], v[110:111]
	v_fma_f64 v[44:45], v[44:45], v[179:180], -v[112:113]
	s_load_b64 s[10:11], s[0:1], 0x38
	s_load_b128 s[4:7], s[6:7], 0x0
	v_fma_f64 v[50:51], v[50:51], v[163:164], v[118:119]
	v_fma_f64 v[52:53], v[52:53], v[163:164], -v[120:121]
	v_fma_f64 v[54:55], v[54:55], v[155:156], v[122:123]
	v_fma_f64 v[56:57], v[56:57], v[155:156], -v[124:125]
	;; [unrolled: 2-line block ×4, first 2 shown]
	ds_store_b128 v252, v[6:9]
	ds_store_b128 v252, v[10:13] offset:1584
	ds_store_b128 v252, v[14:17] offset:3168
	;; [unrolled: 1-line block ×11, first 2 shown]
	v_fma_f64 v[62:63], v[62:63], v[159:160], v[130:131]
	v_fma_f64 v[64:65], v[64:65], v[159:160], -v[132:133]
	v_fma_f64 v[66:67], v[66:67], v[191:192], v[134:135]
	v_fma_f64 v[68:69], v[68:69], v[191:192], -v[136:137]
	;; [unrolled: 2-line block ×3, first 2 shown]
	s_clause 0x1
	scratch_store_b32 off, v142, off
	scratch_store_b32 off, v2, off offset:1748
	ds_store_b128 v252, v[54:57] offset:19008
	ds_store_b128 v252, v[58:61] offset:20592
	;; [unrolled: 1-line block ×5, first 2 shown]
	s_and_saveexec_b32 s3, vcc_lo
	s_cbranch_execz .LBB0_3
; %bb.2:
	scratch_load_b64 v[19:20], off, off offset:148 ; 8-byte Folded Reload
	v_mad_u64_u32 v[9:10], null, 0xffffa030, s8, v[0:1]
	s_mul_i32 s2, s9, 0xffffa030
	s_delay_alu instid0(SALU_CYCLE_1)
	s_sub_i32 s2, s2, s8
	s_delay_alu instid0(VALU_DEP_1) | instid1(SALU_CYCLE_1)
	v_add_nc_u32_e32 v10, s2, v10
	s_delay_alu instid0(VALU_DEP_2) | instskip(NEXT) | instid1(VALU_DEP_1)
	v_add_co_u32 v17, s2, v9, s14
	v_add_co_ci_u32_e64 v18, s2, s15, v10, s2
	s_delay_alu instid0(VALU_DEP_2) | instskip(SKIP_4) | instid1(VALU_DEP_1)
	v_add_co_u32 v26, s2, v17, s14
	global_load_b128 v[6:9], v[9:10], off
	v_add_co_ci_u32_e64 v27, s2, s15, v18, s2
	global_load_b128 v[14:17], v[17:18], off
	v_add_co_u32 v34, s2, v26, s14
	v_add_co_ci_u32_e64 v35, s2, s15, v27, s2
	s_delay_alu instid0(VALU_DEP_2) | instskip(NEXT) | instid1(VALU_DEP_1)
	v_add_co_u32 v42, s2, v34, s14
	v_add_co_ci_u32_e64 v43, s2, s15, v35, s2
	s_delay_alu instid0(VALU_DEP_2) | instskip(NEXT) | instid1(VALU_DEP_1)
	v_add_co_u32 v58, s2, v42, s14
	v_add_co_ci_u32_e64 v59, s2, s15, v43, s2
	s_waitcnt vmcnt(2)
	s_clause 0x2
	global_load_b128 v[0:3], v[19:20], off offset:816
	global_load_b128 v[10:13], v[19:20], off offset:2400
	;; [unrolled: 1-line block ×3, first 2 shown]
	global_load_b128 v[22:25], v[26:27], off
	scratch_load_b64 v[36:37], off, off offset:164 ; 8-byte Folded Reload
	s_waitcnt vmcnt(0)
	global_load_b128 v[26:29], v[36:37], off offset:1472
	global_load_b128 v[30:33], v[34:35], off
	global_load_b128 v[34:37], v[36:37], off offset:3056
	global_load_b128 v[38:41], v[42:43], off
	scratch_load_b64 v[64:65], off, off offset:156 ; 8-byte Folded Reload
	v_mul_f64 v[78:79], v[16:17], v[12:13]
	v_mul_f64 v[80:81], v[14:15], v[12:13]
	;; [unrolled: 1-line block ×6, first 2 shown]
	s_waitcnt vmcnt(0)
	global_load_b128 v[42:45], v[64:65], off offset:544
	global_load_b128 v[46:49], v[58:59], off
	scratch_load_b32 v50, off, off          ; 4-byte Folded Reload
	v_fma_f64 v[6:7], v[6:7], v[0:1], v[74:75]
	v_fma_f64 v[8:9], v[8:9], v[0:1], -v[76:77]
	v_mul_f64 v[88:89], v[32:33], v[28:29]
	v_mul_f64 v[28:29], v[30:31], v[28:29]
	s_waitcnt vmcnt(0)
	v_or_b32_e32 v54, 0x600, v50
	s_delay_alu instid0(VALU_DEP_1) | instskip(NEXT) | instid1(VALU_DEP_1)
	v_mad_u64_u32 v[50:51], null, s8, v54, 0
	v_mad_u64_u32 v[52:53], null, s9, v54, v[51:52]
	s_delay_alu instid0(VALU_DEP_1) | instskip(NEXT) | instid1(VALU_DEP_1)
	v_dual_mov_b32 v51, v52 :: v_dual_lshlrev_b32 v52, 4, v54
	v_lshlrev_b64 v[50:51], 4, v[50:51]
	s_delay_alu instid0(VALU_DEP_1) | instskip(NEXT) | instid1(VALU_DEP_1)
	v_add_co_u32 v4, s2, v4, v50
	v_add_co_ci_u32_e64 v5, s2, v5, v51, s2
	v_add_co_u32 v62, s2, v58, s14
	s_delay_alu instid0(VALU_DEP_1) | instskip(SKIP_3) | instid1(VALU_DEP_1)
	v_add_co_ci_u32_e64 v63, s2, s15, v59, s2
	global_load_b128 v[50:53], v52, s[12:13]
	global_load_b128 v[54:57], v[4:5], off
	v_add_co_u32 v12, s2, v62, s14
	v_add_co_ci_u32_e64 v13, s2, s15, v63, s2
	global_load_b128 v[2:5], v[64:65], off offset:2128
	global_load_b128 v[58:61], v[62:63], off
	global_load_b128 v[62:65], v[64:65], off offset:3712
	global_load_b128 v[66:69], v[12:13], off
	scratch_load_b64 v[84:85], off, off offset:140 ; 8-byte Folded Reload
	v_add_co_u32 v82, s2, v12, s14
	s_delay_alu instid0(VALU_DEP_1) | instskip(SKIP_1) | instid1(VALU_DEP_3)
	v_add_co_ci_u32_e64 v83, s2, s15, v13, s2
	v_fma_f64 v[12:13], v[14:15], v[10:11], v[78:79]
	v_add_co_u32 v0, s2, v82, s14
	s_delay_alu instid0(VALU_DEP_1)
	v_add_co_ci_u32_e64 v1, s2, s15, v83, s2
	v_fma_f64 v[14:15], v[16:17], v[10:11], -v[80:81]
	v_mul_f64 v[10:11], v[40:41], v[36:37]
	v_fma_f64 v[16:17], v[22:23], v[18:19], v[86:87]
	v_fma_f64 v[18:19], v[24:25], v[18:19], -v[20:21]
	v_mul_f64 v[36:37], v[38:39], v[36:37]
	v_fma_f64 v[24:25], v[30:31], v[26:27], v[88:89]
	v_fma_f64 v[26:27], v[32:33], v[26:27], -v[28:29]
	v_fma_f64 v[32:33], v[38:39], v[34:35], v[10:11]
	v_mul_f64 v[10:11], v[46:47], v[44:45]
	v_fma_f64 v[34:35], v[40:41], v[34:35], -v[36:37]
	s_waitcnt vmcnt(0)
	s_clause 0x1
	global_load_b128 v[70:73], v[84:85], off offset:1200
	global_load_b128 v[74:77], v[84:85], off offset:2784
	global_load_b128 v[78:81], v[82:83], off
	global_load_b128 v[82:85], v[0:1], off
	scratch_load_b64 v[92:93], off, off offset:132 ; 8-byte Folded Reload
	v_add_co_u32 v0, s2, v0, s14
	s_delay_alu instid0(VALU_DEP_1) | instskip(NEXT) | instid1(VALU_DEP_2)
	v_add_co_ci_u32_e64 v1, s2, s15, v1, s2
	v_add_co_u32 v90, s2, v0, s14
	global_load_b128 v[28:31], v[0:1], off
	v_add_co_ci_u32_e64 v91, s2, s15, v1, s2
	v_mul_f64 v[0:1], v[48:49], v[44:45]
	global_load_b128 v[36:39], v[90:91], off
	v_fma_f64 v[40:41], v[46:47], v[42:43], v[0:1]
	v_fma_f64 v[42:43], v[48:49], v[42:43], -v[10:11]
	v_mul_f64 v[0:1], v[56:57], v[52:53]
	v_mul_f64 v[10:11], v[54:55], v[52:53]
	;; [unrolled: 1-line block ×4, first 2 shown]
	s_delay_alu instid0(VALU_DEP_4) | instskip(NEXT) | instid1(VALU_DEP_4)
	v_fma_f64 v[44:45], v[54:55], v[50:51], v[0:1]
	v_fma_f64 v[46:47], v[56:57], v[50:51], -v[10:11]
	v_mul_f64 v[10:11], v[68:69], v[64:65]
	v_mul_f64 v[54:55], v[66:67], v[64:65]
	v_fma_f64 v[0:1], v[58:59], v[2:3], v[52:53]
	v_fma_f64 v[2:3], v[60:61], v[2:3], -v[4:5]
	v_add_co_u32 v4, s2, v90, s14
	s_delay_alu instid0(VALU_DEP_1) | instskip(SKIP_2) | instid1(VALU_DEP_1)
	v_add_co_ci_u32_e64 v5, s2, s15, v91, s2
	global_load_b128 v[56:59], v[4:5], off
	v_add_co_u32 v4, s2, v4, s14
	v_add_co_ci_u32_e64 v5, s2, s15, v5, s2
	v_fma_f64 v[52:53], v[66:67], v[62:63], v[10:11]
	v_fma_f64 v[54:55], v[68:69], v[62:63], -v[54:55]
	s_waitcnt vmcnt(5)
	v_mul_f64 v[60:61], v[80:81], v[72:73]
	v_mul_f64 v[64:65], v[78:79], v[72:73]
	s_waitcnt vmcnt(4)
	v_mul_f64 v[72:73], v[84:85], v[76:77]
	v_mul_f64 v[76:77], v[82:83], v[76:77]
	s_delay_alu instid0(VALU_DEP_4) | instskip(NEXT) | instid1(VALU_DEP_4)
	v_fma_f64 v[60:61], v[78:79], v[70:71], v[60:61]
	v_fma_f64 v[62:63], v[80:81], v[70:71], -v[64:65]
	scratch_load_b64 v[79:80], off, off offset:124 ; 8-byte Folded Reload
	s_waitcnt vmcnt(4)
	s_clause 0x2
	global_load_b128 v[20:23], v[92:93], off offset:272
	global_load_b128 v[86:89], v[92:93], off offset:1856
	;; [unrolled: 1-line block ×3, first 2 shown]
	v_fma_f64 v[72:73], v[82:83], v[74:75], v[72:73]
	v_fma_f64 v[74:75], v[84:85], v[74:75], -v[76:77]
	s_waitcnt vmcnt(3)
	global_load_b128 v[64:67], v[79:80], off offset:928
	global_load_b128 v[68:71], v[4:5], off
	s_waitcnt vmcnt(4)
	v_mul_f64 v[10:11], v[30:31], v[22:23]
	v_mul_f64 v[22:23], v[28:29], v[22:23]
	s_waitcnt vmcnt(3)
	v_mul_f64 v[84:85], v[38:39], v[88:89]
	v_mul_f64 v[88:89], v[36:37], v[88:89]
	v_add_co_u32 v4, s2, v4, s14
	s_delay_alu instid0(VALU_DEP_1) | instskip(NEXT) | instid1(VALU_DEP_1)
	v_add_co_ci_u32_e64 v5, s2, s15, v5, s2
	v_mad_u64_u32 v[90:91], null, 0xc60, s8, v[4:5]
	s_delay_alu instid0(VALU_DEP_1) | instskip(NEXT) | instid1(VALU_DEP_1)
	v_mov_b32_e32 v76, v91
	v_mad_u64_u32 v[77:78], null, 0xc60, s9, v[76:77]
	s_delay_alu instid0(VALU_DEP_1)
	v_mov_b32_e32 v91, v77
	v_fma_f64 v[28:29], v[28:29], v[20:21], v[10:11]
	scratch_load_b64 v[10:11], off, off offset:116 ; 8-byte Folded Reload
	v_fma_f64 v[30:31], v[30:31], v[20:21], -v[22:23]
	global_load_b128 v[20:23], v[79:80], off offset:2512
	v_fma_f64 v[36:37], v[36:37], v[86:87], v[84:85]
	v_fma_f64 v[38:39], v[38:39], v[86:87], -v[88:89]
	s_waitcnt vmcnt(1)
	global_load_b128 v[76:79], v[10:11], off offset:1584
	global_load_b128 v[80:83], v[4:5], off
	global_load_b128 v[84:87], v[90:91], off
	v_mul_f64 v[4:5], v[58:59], v[50:51]
	v_mul_f64 v[10:11], v[56:57], v[50:51]
	;; [unrolled: 1-line block ×3, first 2 shown]
	s_delay_alu instid0(VALU_DEP_3) | instskip(SKIP_1) | instid1(VALU_DEP_4)
	v_fma_f64 v[56:57], v[56:57], v[48:49], v[4:5]
	v_mul_f64 v[4:5], v[68:69], v[66:67]
	v_fma_f64 v[58:59], v[58:59], v[48:49], -v[10:11]
	s_delay_alu instid0(VALU_DEP_4) | instskip(NEXT) | instid1(VALU_DEP_3)
	v_fma_f64 v[48:49], v[68:69], v[64:65], v[50:51]
	v_fma_f64 v[50:51], v[70:71], v[64:65], -v[4:5]
	s_waitcnt vmcnt(1)
	v_mul_f64 v[10:11], v[82:83], v[22:23]
	v_mul_f64 v[22:23], v[80:81], v[22:23]
	s_waitcnt vmcnt(0)
	v_mul_f64 v[88:89], v[86:87], v[78:79]
	v_mul_f64 v[4:5], v[84:85], v[78:79]
	s_delay_alu instid0(VALU_DEP_4) | instskip(NEXT) | instid1(VALU_DEP_4)
	v_fma_f64 v[64:65], v[80:81], v[20:21], v[10:11]
	v_fma_f64 v[66:67], v[82:83], v[20:21], -v[22:23]
	s_delay_alu instid0(VALU_DEP_4) | instskip(NEXT) | instid1(VALU_DEP_4)
	v_fma_f64 v[20:21], v[84:85], v[76:77], v[88:89]
	v_fma_f64 v[22:23], v[86:87], v[76:77], -v[4:5]
	ds_store_b128 v252, v[6:9] offset:816
	ds_store_b128 v252, v[12:15] offset:2400
	;; [unrolled: 1-line block ×17, first 2 shown]
.LBB0_3:
	s_or_b32 exec_lo, exec_lo, s3
	s_waitcnt lgkmcnt(0)
	s_waitcnt_vscnt null, 0x0
	s_barrier
	buffer_gl0_inv
	ds_load_b128 v[68:71], v252
	ds_load_b128 v[72:75], v252 offset:1584
	ds_load_b128 v[76:79], v252 offset:3168
	ds_load_b128 v[84:87], v252 offset:4752
	ds_load_b128 v[92:95], v252 offset:6336
	ds_load_b128 v[100:103], v252 offset:7920
	ds_load_b128 v[112:115], v252 offset:9504
	ds_load_b128 v[120:123], v252 offset:11088
	ds_load_b128 v[132:135], v252 offset:12672
	ds_load_b128 v[128:131], v252 offset:14256
	ds_load_b128 v[124:127], v252 offset:15840
	ds_load_b128 v[116:119], v252 offset:17424
	ds_load_b128 v[108:111], v252 offset:19008
	ds_load_b128 v[104:107], v252 offset:20592
	ds_load_b128 v[96:99], v252 offset:22176
	ds_load_b128 v[88:91], v252 offset:23760
	ds_load_b128 v[80:83], v252 offset:25344
	s_load_b64 s[2:3], s[0:1], 0x8
                                        ; implicit-def: $vgpr2_vgpr3
                                        ; implicit-def: $vgpr0_vgpr1
                                        ; implicit-def: $vgpr44_vgpr45
                                        ; implicit-def: $vgpr48_vgpr49
                                        ; implicit-def: $vgpr56_vgpr57
                                        ; implicit-def: $vgpr60_vgpr61
                                        ; implicit-def: $vgpr64_vgpr65
                                        ; implicit-def: $vgpr52_vgpr53
                                        ; implicit-def: $vgpr40_vgpr41
                                        ; implicit-def: $vgpr36_vgpr37
                                        ; implicit-def: $vgpr32_vgpr33
                                        ; implicit-def: $vgpr28_vgpr29
	s_clause 0x5
	scratch_store_b128 off, v[2:5], off offset:100
	; meta instruction
	scratch_store_b128 off, v[2:5], off offset:84
	; meta instruction
	;; [unrolled: 2-line block ×5, first 2 shown]
	scratch_store_b128 off, v[2:5], off offset:20
	s_and_saveexec_b32 s0, vcc_lo
	s_cbranch_execz .LBB0_5
; %bb.4:
	ds_load_b128 v[0:3], v252 offset:816
	ds_load_b128 v[44:47], v252 offset:2400
	;; [unrolled: 1-line block ×12, first 2 shown]
	s_waitcnt lgkmcnt(0)
	scratch_store_b128 off, v[4:7], off offset:100 ; 16-byte Folded Spill
	ds_load_b128 v[4:7], v252 offset:19824
	s_waitcnt lgkmcnt(0)
	scratch_store_b128 off, v[4:7], off offset:84 ; 16-byte Folded Spill
	ds_load_b128 v[4:7], v252 offset:21408
	;; [unrolled: 3-line block ×5, first 2 shown]
	s_waitcnt lgkmcnt(0)
	scratch_store_b128 off, v[4:7], off offset:20 ; 16-byte Folded Spill
.LBB0_5:
	s_or_b32 exec_lo, exec_lo, s0
	s_waitcnt lgkmcnt(0)
	v_add_f64 v[136:137], v[68:69], v[72:73]
	v_add_f64 v[138:139], v[70:71], v[74:75]
	v_add_f64 v[142:143], v[134:135], -v[130:131]
	v_add_f64 v[140:141], v[132:133], -v[128:129]
	;; [unrolled: 1-line block ×6, first 2 shown]
	s_mov_b32 s0, 0x5d8e7cdc
	s_mov_b32 s14, 0x2a9d6da3
	;; [unrolled: 1-line block ×30, first 2 shown]
	v_add_f64 v[136:137], v[136:137], v[76:77]
	v_add_f64 v[138:139], v[138:139], v[78:79]
	s_mov_b32 s23, 0xbfeb34fa
	s_mov_b32 s39, 0xbfef7484
	;; [unrolled: 1-line block ×10, first 2 shown]
	v_mul_f64 v[236:237], v[154:155], s[20:21]
	s_mov_b32 s55, 0x3fc7851a
	s_mov_b32 s54, s36
	v_mul_f64 v[238:239], v[152:153], s[20:21]
	v_mul_f64 v[240:241], v[150:151], s[54:55]
	;; [unrolled: 1-line block ×3, first 2 shown]
	s_mov_b32 s51, 0x3fe58eea
	s_mov_b32 s50, s14
	;; [unrolled: 1-line block ×4, first 2 shown]
	v_mul_f64 v[24:25], v[142:143], s[50:51]
	s_mov_b32 s59, 0x3fefdd0d
	s_mov_b32 s58, s30
	v_add_f64 v[136:137], v[136:137], v[84:85]
	v_add_f64 v[138:139], v[138:139], v[86:87]
	s_delay_alu instid0(VALU_DEP_2) | instskip(NEXT) | instid1(VALU_DEP_2)
	v_add_f64 v[136:137], v[136:137], v[92:93]
	v_add_f64 v[138:139], v[138:139], v[94:95]
	s_delay_alu instid0(VALU_DEP_2) | instskip(NEXT) | instid1(VALU_DEP_2)
	v_add_f64 v[136:137], v[136:137], v[100:101]
	v_add_f64 v[138:139], v[138:139], v[102:103]
	s_delay_alu instid0(VALU_DEP_2) | instskip(NEXT) | instid1(VALU_DEP_2)
	v_add_f64 v[136:137], v[136:137], v[112:113]
	v_add_f64 v[138:139], v[138:139], v[114:115]
	s_delay_alu instid0(VALU_DEP_2) | instskip(NEXT) | instid1(VALU_DEP_2)
	v_add_f64 v[136:137], v[136:137], v[120:121]
	v_add_f64 v[138:139], v[138:139], v[122:123]
	s_delay_alu instid0(VALU_DEP_2) | instskip(NEXT) | instid1(VALU_DEP_2)
	v_add_f64 v[136:137], v[136:137], v[132:133]
	v_add_f64 v[138:139], v[138:139], v[134:135]
	;; [unrolled: 1-line block ×4, first 2 shown]
	s_delay_alu instid0(VALU_DEP_4) | instskip(NEXT) | instid1(VALU_DEP_4)
	v_add_f64 v[144:145], v[136:137], v[128:129]
	v_add_f64 v[146:147], v[138:139], v[130:131]
	;; [unrolled: 1-line block ×4, first 2 shown]
	v_add_f64 v[136:137], v[120:121], -v[124:125]
	v_add_f64 v[138:139], v[122:123], -v[126:127]
	v_add_f64 v[120:121], v[112:113], v[116:117]
	v_add_f64 v[122:123], v[114:115], v[118:119]
	v_fma_f64 v[26:27], v[132:133], s[18:19], -v[24:25]
	v_add_f64 v[144:145], v[144:145], v[124:125]
	v_add_f64 v[146:147], v[146:147], v[126:127]
	v_add_f64 v[124:125], v[112:113], -v[116:117]
	v_add_f64 v[126:127], v[114:115], -v[118:119]
	v_add_f64 v[112:113], v[100:101], v[108:109]
	v_add_f64 v[114:115], v[102:103], v[110:111]
	v_mul_f64 v[12:13], v[136:137], s[30:31]
	v_mul_f64 v[8:9], v[138:139], s[30:31]
	;; [unrolled: 1-line block ×3, first 2 shown]
	v_add_f64 v[144:145], v[144:145], v[116:117]
	v_add_f64 v[146:147], v[146:147], v[118:119]
	v_add_f64 v[116:117], v[100:101], -v[108:109]
	v_add_f64 v[118:119], v[102:103], -v[110:111]
	v_add_f64 v[100:101], v[92:93], v[104:105]
	v_add_f64 v[102:103], v[94:95], v[106:107]
	v_mul_f64 v[4:5], v[124:125], s[0:1]
	v_mul_f64 v[253:254], v[126:127], s[0:1]
	v_fma_f64 v[14:15], v[130:131], s[34:35], v[12:13]
	v_fma_f64 v[10:11], v[128:129], s[34:35], -v[8:9]
	v_mul_f64 v[16:17], v[126:127], s[16:17]
	v_fma_f64 v[22:23], v[128:129], s[26:27], -v[20:21]
	v_fma_f64 v[20:21], v[128:129], s[26:27], v[20:21]
	v_fma_f64 v[8:9], v[128:129], s[34:35], v[8:9]
	v_add_f64 v[108:109], v[144:145], v[108:109]
	v_add_f64 v[110:111], v[146:147], v[110:111]
	v_add_f64 v[144:145], v[92:93], -v[104:105]
	v_add_f64 v[146:147], v[94:95], -v[106:107]
	v_mul_f64 v[248:249], v[118:119], s[50:51]
	v_mul_f64 v[250:251], v[116:117], s[50:51]
	v_fma_f64 v[6:7], v[122:123], s[8:9], v[4:5]
	v_fma_f64 v[4:5], v[122:123], s[8:9], -v[4:5]
	v_fma_f64 v[18:19], v[120:121], s[22:23], -v[16:17]
	v_fma_f64 v[16:17], v[120:121], s[22:23], v[16:17]
	v_add_f64 v[92:93], v[108:109], v[104:105]
	v_add_f64 v[94:95], v[110:111], v[106:107]
	;; [unrolled: 1-line block ×4, first 2 shown]
	v_mul_f64 v[244:245], v[146:147], s[56:57]
	v_mul_f64 v[246:247], v[144:145], s[56:57]
	v_add_f64 v[84:85], v[92:93], v[96:97]
	v_add_f64 v[86:87], v[94:95], v[98:99]
	;; [unrolled: 1-line block ×4, first 2 shown]
	s_delay_alu instid0(VALU_DEP_4) | instskip(NEXT) | instid1(VALU_DEP_4)
	v_add_f64 v[76:77], v[84:85], v[88:89]
	v_add_f64 v[78:79], v[86:87], v[90:91]
	v_add_f64 v[84:85], v[74:75], -v[82:83]
	v_add_f64 v[90:91], v[72:73], -v[80:81]
	v_add_f64 v[86:87], v[72:73], v[80:81]
	v_add_f64 v[88:89], v[74:75], v[82:83]
	;; [unrolled: 1-line block ×4, first 2 shown]
	v_mul_f64 v[76:77], v[84:85], s[0:1]
	v_mul_f64 v[78:79], v[84:85], s[14:15]
	;; [unrolled: 1-line block ×13, first 2 shown]
	v_fma_f64 v[110:111], v[86:87], s[8:9], -v[76:77]
	v_fma_f64 v[76:77], v[86:87], s[8:9], v[76:77]
	v_fma_f64 v[156:157], v[86:87], s[18:19], -v[78:79]
	v_fma_f64 v[78:79], v[86:87], s[18:19], v[78:79]
	v_fma_f64 v[158:159], v[86:87], s[28:29], -v[80:81]
	v_fma_f64 v[80:81], v[86:87], s[28:29], v[80:81]
	v_fma_f64 v[160:161], v[86:87], s[34:35], -v[82:83]
	v_fma_f64 v[82:83], v[86:87], s[34:35], v[82:83]
	v_fma_f64 v[162:163], v[86:87], s[40:41], -v[92:93]
	v_fma_f64 v[92:93], v[86:87], s[40:41], v[92:93]
	v_fma_f64 v[164:165], v[86:87], s[26:27], -v[94:95]
	v_fma_f64 v[94:95], v[86:87], s[26:27], v[94:95]
	v_fma_f64 v[166:167], v[86:87], s[22:23], -v[108:109]
	v_fma_f64 v[168:169], v[86:87], s[22:23], v[108:109]
	v_fma_f64 v[172:173], v[86:87], s[38:39], -v[84:85]
	v_fma_f64 v[84:85], v[86:87], s[38:39], v[84:85]
	v_mul_f64 v[86:87], v[90:91], s[0:1]
	v_mul_f64 v[108:109], v[90:91], s[14:15]
	;; [unrolled: 1-line block ×3, first 2 shown]
	v_fma_f64 v[190:191], v[88:89], s[34:35], v[174:175]
	v_fma_f64 v[174:175], v[88:89], s[34:35], -v[174:175]
	v_fma_f64 v[188:189], v[88:89], s[28:29], v[170:171]
	v_fma_f64 v[170:171], v[88:89], s[28:29], -v[170:171]
	;; [unrolled: 2-line block ×5, first 2 shown]
	v_add_f64 v[204:205], v[68:69], v[76:77]
	v_add_f64 v[206:207], v[68:69], v[156:157]
	;; [unrolled: 1-line block ×11, first 2 shown]
	v_mul_f64 v[80:81], v[152:153], s[14:15]
	v_add_f64 v[166:167], v[68:69], v[172:173]
	v_add_f64 v[162:163], v[68:69], v[84:85]
	v_fma_f64 v[182:183], v[88:89], s[8:9], v[86:87]
	v_fma_f64 v[86:87], v[88:89], s[8:9], -v[86:87]
	v_fma_f64 v[184:185], v[88:89], s[18:19], v[108:109]
	v_fma_f64 v[186:187], v[88:89], s[18:19], -v[108:109]
	;; [unrolled: 2-line block ×3, first 2 shown]
	v_add_f64 v[90:91], v[68:69], v[110:111]
	v_add_f64 v[108:109], v[68:69], v[78:79]
	;; [unrolled: 1-line block ×4, first 2 shown]
	v_mul_f64 v[68:69], v[154:155], s[14:15]
	v_add_f64 v[210:211], v[70:71], v[188:189]
	v_add_f64 v[156:157], v[70:71], v[170:171]
	;; [unrolled: 1-line block ×9, first 2 shown]
	v_mul_f64 v[82:83], v[150:151], s[24:25]
	v_mul_f64 v[84:85], v[148:149], s[24:25]
	;; [unrolled: 1-line block ×14, first 2 shown]
	v_fma_f64 v[76:77], v[98:99], s[18:19], v[80:81]
	v_fma_f64 v[80:81], v[98:99], s[18:19], -v[80:81]
	v_add_f64 v[182:183], v[70:71], v[182:183]
	v_add_f64 v[86:87], v[70:71], v[86:87]
	;; [unrolled: 1-line block ×6, first 2 shown]
	v_mul_f64 v[88:89], v[146:147], s[30:31]
	v_mul_f64 v[186:187], v[116:117], s[44:45]
	;; [unrolled: 1-line block ×3, first 2 shown]
	v_fma_f64 v[70:71], v[96:97], s[18:19], -v[68:69]
	v_fma_f64 v[68:69], v[96:97], s[18:19], v[68:69]
	v_fma_f64 v[78:79], v[104:105], s[28:29], -v[82:83]
	v_fma_f64 v[82:83], v[104:105], s[28:29], v[82:83]
	v_add_f64 v[76:77], v[76:77], v[182:183]
	v_add_f64 v[80:81], v[80:81], v[86:87]
	v_fma_f64 v[86:87], v[98:99], s[26:27], v[238:239]
	v_add_f64 v[70:71], v[70:71], v[90:91]
	v_mul_f64 v[90:91], v[144:145], s[30:31]
	v_add_f64 v[68:69], v[68:69], v[204:205]
	v_mul_f64 v[204:205], v[150:151], s[56:57]
	;; [unrolled: 2-line block ×3, first 2 shown]
	v_add_f64 v[70:71], v[78:79], v[70:71]
	v_fma_f64 v[78:79], v[106:107], s[28:29], v[84:85]
	v_add_f64 v[68:69], v[82:83], v[68:69]
	v_fma_f64 v[82:83], v[106:107], s[28:29], -v[84:85]
	s_delay_alu instid0(VALU_DEP_3) | instskip(SKIP_1) | instid1(VALU_DEP_3)
	v_add_f64 v[76:77], v[78:79], v[76:77]
	v_fma_f64 v[78:79], v[100:101], s[34:35], -v[88:89]
	v_add_f64 v[80:81], v[82:83], v[80:81]
	v_fma_f64 v[82:83], v[100:101], s[34:35], v[88:89]
	v_fma_f64 v[88:89], v[104:105], s[38:39], -v[240:241]
	s_delay_alu instid0(VALU_DEP_4) | instskip(SKIP_1) | instid1(VALU_DEP_4)
	v_add_f64 v[70:71], v[78:79], v[70:71]
	v_fma_f64 v[78:79], v[102:103], s[34:35], v[90:91]
	v_add_f64 v[68:69], v[82:83], v[68:69]
	v_fma_f64 v[82:83], v[102:103], s[34:35], -v[90:91]
	v_mul_f64 v[90:91], v[152:153], s[36:37]
	s_delay_alu instid0(VALU_DEP_4) | instskip(SKIP_1) | instid1(VALU_DEP_4)
	v_add_f64 v[76:77], v[78:79], v[76:77]
	v_fma_f64 v[78:79], v[112:113], s[40:41], -v[92:93]
	v_add_f64 v[80:81], v[82:83], v[80:81]
	v_fma_f64 v[82:83], v[112:113], s[40:41], v[92:93]
	v_fma_f64 v[92:93], v[98:99], s[38:39], v[90:91]
	s_delay_alu instid0(VALU_DEP_4) | instskip(SKIP_1) | instid1(VALU_DEP_4)
	v_add_f64 v[70:71], v[78:79], v[70:71]
	v_fma_f64 v[78:79], v[114:115], s[40:41], v[94:95]
	v_add_f64 v[68:69], v[82:83], v[68:69]
	v_fma_f64 v[82:83], v[114:115], s[40:41], -v[94:95]
	v_fma_f64 v[94:95], v[104:105], s[40:41], -v[204:205]
	v_add_f64 v[92:93], v[92:93], v[214:215]
	v_mul_f64 v[214:215], v[116:117], s[24:25]
	v_add_f64 v[76:77], v[78:79], v[76:77]
	v_fma_f64 v[78:79], v[120:121], s[26:27], -v[168:169]
	v_add_f64 v[80:81], v[82:83], v[80:81]
	v_fma_f64 v[82:83], v[120:121], s[26:27], v[168:169]
	v_mul_f64 v[168:169], v[154:155], s[30:31]
	s_delay_alu instid0(VALU_DEP_4) | instskip(SKIP_1) | instid1(VALU_DEP_4)
	v_add_f64 v[70:71], v[78:79], v[70:71]
	v_fma_f64 v[78:79], v[122:123], s[26:27], v[172:173]
	v_add_f64 v[68:69], v[82:83], v[68:69]
	v_fma_f64 v[82:83], v[122:123], s[26:27], -v[172:173]
	v_mul_f64 v[172:173], v[152:153], s[30:31]
	s_delay_alu instid0(VALU_DEP_4) | instskip(SKIP_1) | instid1(VALU_DEP_4)
	v_add_f64 v[76:77], v[78:79], v[76:77]
	v_fma_f64 v[78:79], v[128:129], s[22:23], -v[176:177]
	v_add_f64 v[80:81], v[82:83], v[80:81]
	v_fma_f64 v[82:83], v[128:129], s[22:23], v[176:177]
	v_mul_f64 v[176:177], v[150:151], s[20:21]
	s_delay_alu instid0(VALU_DEP_4) | instskip(SKIP_1) | instid1(VALU_DEP_4)
	v_add_f64 v[70:71], v[78:79], v[70:71]
	v_fma_f64 v[78:79], v[130:131], s[22:23], v[178:179]
	v_add_f64 v[68:69], v[82:83], v[68:69]
	v_fma_f64 v[82:83], v[130:131], s[22:23], -v[178:179]
	v_fma_f64 v[84:85], v[104:105], s[26:27], -v[176:177]
	v_mul_f64 v[178:179], v[148:149], s[20:21]
	v_add_f64 v[78:79], v[78:79], v[76:77]
	v_fma_f64 v[76:77], v[132:133], s[38:39], -v[180:181]
	v_add_f64 v[80:81], v[82:83], v[80:81]
	v_fma_f64 v[82:83], v[132:133], s[38:39], v[180:181]
	v_mul_f64 v[180:181], v[146:147], s[36:37]
	s_delay_alu instid0(VALU_DEP_4) | instskip(SKIP_1) | instid1(VALU_DEP_4)
	v_add_f64 v[76:77], v[76:77], v[70:71]
	v_mul_f64 v[70:71], v[140:141], s[36:37]
	v_add_f64 v[68:69], v[82:83], v[68:69]
	v_fma_f64 v[82:83], v[98:99], s[34:35], v[172:173]
	s_delay_alu instid0(VALU_DEP_3) | instskip(SKIP_1) | instid1(VALU_DEP_3)
	v_fma_f64 v[182:183], v[134:135], s[38:39], v[70:71]
	v_fma_f64 v[70:71], v[134:135], s[38:39], -v[70:71]
	v_add_f64 v[82:83], v[82:83], v[184:185]
	v_mul_f64 v[184:185], v[118:119], s[44:45]
	s_delay_alu instid0(VALU_DEP_4) | instskip(NEXT) | instid1(VALU_DEP_4)
	v_add_f64 v[78:79], v[182:183], v[78:79]
	v_add_f64 v[70:71], v[70:71], v[80:81]
	v_fma_f64 v[80:81], v[96:97], s[34:35], -v[168:169]
	v_mul_f64 v[182:183], v[144:145], s[36:37]
	s_delay_alu instid0(VALU_DEP_2) | instskip(SKIP_1) | instid1(VALU_DEP_2)
	v_add_f64 v[80:81], v[80:81], v[206:207]
	v_mul_f64 v[206:207], v[148:149], s[56:57]
	v_add_f64 v[80:81], v[84:85], v[80:81]
	v_fma_f64 v[84:85], v[106:107], s[26:27], v[178:179]
	s_delay_alu instid0(VALU_DEP_1) | instskip(SKIP_1) | instid1(VALU_DEP_1)
	v_add_f64 v[82:83], v[84:85], v[82:83]
	v_fma_f64 v[84:85], v[100:101], s[38:39], -v[180:181]
	v_add_f64 v[80:81], v[84:85], v[80:81]
	v_fma_f64 v[84:85], v[102:103], s[38:39], v[182:183]
	s_delay_alu instid0(VALU_DEP_1) | instskip(SKIP_1) | instid1(VALU_DEP_1)
	v_add_f64 v[82:83], v[84:85], v[82:83]
	v_fma_f64 v[84:85], v[112:113], s[22:23], -v[184:185]
	;; [unrolled: 5-line block ×6, first 2 shown]
	v_add_f64 v[84:85], v[84:85], v[208:209]
	v_mul_f64 v[208:209], v[146:147], s[46:47]
	s_delay_alu instid0(VALU_DEP_2) | instskip(SKIP_1) | instid1(VALU_DEP_1)
	v_add_f64 v[84:85], v[88:89], v[84:85]
	v_fma_f64 v[88:89], v[106:107], s[38:39], v[242:243]
	v_add_f64 v[86:87], v[88:89], v[86:87]
	v_fma_f64 v[88:89], v[100:101], s[40:41], -v[244:245]
	s_delay_alu instid0(VALU_DEP_1) | instskip(SKIP_1) | instid1(VALU_DEP_1)
	v_add_f64 v[84:85], v[88:89], v[84:85]
	v_fma_f64 v[88:89], v[102:103], s[40:41], v[246:247]
	v_add_f64 v[86:87], v[88:89], v[86:87]
	v_fma_f64 v[88:89], v[112:113], s[18:19], -v[248:249]
	s_delay_alu instid0(VALU_DEP_1) | instskip(SKIP_1) | instid1(VALU_DEP_1)
	v_add_f64 v[84:85], v[88:89], v[84:85]
	v_fma_f64 v[88:89], v[114:115], s[18:19], v[250:251]
	v_add_f64 v[86:87], v[88:89], v[86:87]
	v_fma_f64 v[88:89], v[120:121], s[8:9], -v[253:254]
	s_delay_alu instid0(VALU_DEP_2) | instskip(NEXT) | instid1(VALU_DEP_2)
	v_add_f64 v[6:7], v[6:7], v[86:87]
	v_add_f64 v[84:85], v[88:89], v[84:85]
	s_delay_alu instid0(VALU_DEP_2) | instskip(SKIP_1) | instid1(VALU_DEP_3)
	v_add_f64 v[6:7], v[14:15], v[6:7]
	v_mul_f64 v[14:15], v[142:143], s[16:17]
	v_add_f64 v[10:11], v[10:11], v[84:85]
	s_delay_alu instid0(VALU_DEP_2) | instskip(NEXT) | instid1(VALU_DEP_1)
	v_fma_f64 v[84:85], v[132:133], s[22:23], -v[14:15]
	v_add_f64 v[84:85], v[84:85], v[10:11]
	v_mul_f64 v[10:11], v[140:141], s[16:17]
	s_delay_alu instid0(VALU_DEP_1) | instskip(SKIP_1) | instid1(VALU_DEP_2)
	v_fma_f64 v[86:87], v[134:135], s[22:23], v[10:11]
	v_fma_f64 v[10:11], v[134:135], s[22:23], -v[10:11]
	v_add_f64 v[86:87], v[86:87], v[6:7]
	v_mul_f64 v[6:7], v[154:155], s[36:37]
	s_delay_alu instid0(VALU_DEP_1) | instskip(SKIP_1) | instid1(VALU_DEP_2)
	v_fma_f64 v[88:89], v[96:97], s[38:39], -v[6:7]
	v_fma_f64 v[6:7], v[96:97], s[38:39], v[6:7]
	v_add_f64 v[88:89], v[88:89], v[212:213]
	v_mul_f64 v[212:213], v[118:119], s[24:25]
	s_delay_alu instid0(VALU_DEP_3) | instskip(SKIP_1) | instid1(VALU_DEP_4)
	v_add_f64 v[6:7], v[6:7], v[216:217]
	v_mul_f64 v[216:217], v[124:125], s[58:59]
	v_add_f64 v[88:89], v[94:95], v[88:89]
	v_fma_f64 v[94:95], v[106:107], s[40:41], v[206:207]
	s_delay_alu instid0(VALU_DEP_1) | instskip(SKIP_1) | instid1(VALU_DEP_1)
	v_add_f64 v[92:93], v[94:95], v[92:93]
	v_fma_f64 v[94:95], v[100:101], s[8:9], -v[208:209]
	v_add_f64 v[88:89], v[94:95], v[88:89]
	v_fma_f64 v[94:95], v[102:103], s[8:9], v[210:211]
	s_delay_alu instid0(VALU_DEP_1) | instskip(SKIP_1) | instid1(VALU_DEP_1)
	v_add_f64 v[92:93], v[94:95], v[92:93]
	v_fma_f64 v[94:95], v[112:113], s[28:29], -v[212:213]
	v_add_f64 v[88:89], v[94:95], v[88:89]
	v_fma_f64 v[94:95], v[114:115], s[28:29], v[214:215]
	s_delay_alu instid0(VALU_DEP_2) | instskip(SKIP_1) | instid1(VALU_DEP_3)
	v_add_f64 v[18:19], v[18:19], v[88:89]
	v_mul_f64 v[88:89], v[124:125], s[16:17]
	v_add_f64 v[92:93], v[94:95], v[92:93]
	s_delay_alu instid0(VALU_DEP_3) | instskip(NEXT) | instid1(VALU_DEP_3)
	v_add_f64 v[18:19], v[22:23], v[18:19]
	v_fma_f64 v[94:95], v[122:123], s[22:23], v[88:89]
	v_mul_f64 v[22:23], v[136:137], s[52:53]
	s_delay_alu instid0(VALU_DEP_2) | instskip(NEXT) | instid1(VALU_DEP_2)
	v_add_f64 v[92:93], v[94:95], v[92:93]
	v_fma_f64 v[94:95], v[130:131], s[26:27], v[22:23]
	s_delay_alu instid0(VALU_DEP_1) | instskip(SKIP_2) | instid1(VALU_DEP_1)
	v_add_f64 v[94:95], v[94:95], v[92:93]
	v_add_f64 v[92:93], v[26:27], v[18:19]
	v_mul_f64 v[18:19], v[140:141], s[50:51]
	v_fma_f64 v[26:27], v[134:135], s[18:19], v[18:19]
	v_fma_f64 v[18:19], v[134:135], s[18:19], -v[18:19]
	s_delay_alu instid0(VALU_DEP_2) | instskip(SKIP_2) | instid1(VALU_DEP_2)
	v_add_f64 v[94:95], v[26:27], v[94:95]
	v_fma_f64 v[26:27], v[98:99], s[38:39], -v[90:91]
	v_fma_f64 v[90:91], v[104:105], s[40:41], v[204:205]
	v_add_f64 v[26:27], v[26:27], v[218:219]
	s_delay_alu instid0(VALU_DEP_2) | instskip(SKIP_2) | instid1(VALU_DEP_2)
	v_add_f64 v[6:7], v[90:91], v[6:7]
	v_fma_f64 v[90:91], v[106:107], s[40:41], -v[206:207]
	v_mul_f64 v[218:219], v[138:139], s[0:1]
	v_add_f64 v[26:27], v[90:91], v[26:27]
	v_fma_f64 v[90:91], v[100:101], s[8:9], v[208:209]
	v_mul_f64 v[208:209], v[144:145], s[24:25]
	s_delay_alu instid0(VALU_DEP_2) | instskip(SKIP_2) | instid1(VALU_DEP_2)
	v_add_f64 v[6:7], v[90:91], v[6:7]
	v_fma_f64 v[90:91], v[102:103], s[8:9], -v[210:211]
	v_mul_f64 v[210:211], v[118:119], s[36:37]
	v_add_f64 v[26:27], v[90:91], v[26:27]
	v_fma_f64 v[90:91], v[112:113], s[28:29], v[212:213]
	v_mul_f64 v[212:213], v[116:117], s[36:37]
	s_delay_alu instid0(VALU_DEP_2) | instskip(SKIP_2) | instid1(VALU_DEP_3)
	v_add_f64 v[6:7], v[90:91], v[6:7]
	v_fma_f64 v[90:91], v[114:115], s[28:29], -v[214:215]
	v_mul_f64 v[214:215], v[126:127], s[58:59]
	v_add_f64 v[6:7], v[16:17], v[6:7]
	s_delay_alu instid0(VALU_DEP_3) | instskip(SKIP_1) | instid1(VALU_DEP_3)
	v_add_f64 v[26:27], v[90:91], v[26:27]
	v_fma_f64 v[16:17], v[122:123], s[22:23], -v[88:89]
	v_add_f64 v[6:7], v[20:21], v[6:7]
	v_fma_f64 v[20:21], v[130:131], s[26:27], -v[22:23]
	s_delay_alu instid0(VALU_DEP_3) | instskip(SKIP_1) | instid1(VALU_DEP_2)
	v_add_f64 v[16:17], v[16:17], v[26:27]
	v_mul_f64 v[22:23], v[150:151], s[50:51]
	v_add_f64 v[16:17], v[20:21], v[16:17]
	v_fma_f64 v[20:21], v[132:133], s[18:19], v[24:25]
	s_delay_alu instid0(VALU_DEP_3) | instskip(NEXT) | instid1(VALU_DEP_3)
	v_fma_f64 v[24:25], v[104:105], s[18:19], -v[22:23]
	v_add_f64 v[90:91], v[18:19], v[16:17]
	s_delay_alu instid0(VALU_DEP_3) | instskip(SKIP_2) | instid1(VALU_DEP_2)
	v_add_f64 v[88:89], v[20:21], v[6:7]
	v_mul_f64 v[6:7], v[154:155], s[44:45]
	v_mul_f64 v[18:19], v[152:153], s[44:45]
	v_fma_f64 v[16:17], v[96:97], s[22:23], -v[6:7]
	s_delay_alu instid0(VALU_DEP_2) | instskip(SKIP_2) | instid1(VALU_DEP_4)
	v_fma_f64 v[20:21], v[98:99], s[22:23], v[18:19]
	v_fma_f64 v[6:7], v[96:97], s[22:23], v[6:7]
	v_fma_f64 v[18:19], v[98:99], s[22:23], -v[18:19]
	v_add_f64 v[16:17], v[16:17], v[220:221]
	s_delay_alu instid0(VALU_DEP_4)
	v_add_f64 v[20:21], v[20:21], v[222:223]
	v_mul_f64 v[220:221], v[136:137], s[0:1]
	v_mul_f64 v[222:223], v[142:143], s[20:21]
	v_add_f64 v[6:7], v[6:7], v[224:225]
	v_add_f64 v[18:19], v[18:19], v[226:227]
	v_mul_f64 v[224:225], v[124:125], s[14:15]
	v_mul_f64 v[226:227], v[138:139], s[36:37]
	v_add_f64 v[16:17], v[24:25], v[16:17]
	v_mul_f64 v[24:25], v[148:149], s[50:51]
	s_delay_alu instid0(VALU_DEP_1) | instskip(NEXT) | instid1(VALU_DEP_1)
	v_fma_f64 v[26:27], v[106:107], s[18:19], v[24:25]
	v_add_f64 v[20:21], v[26:27], v[20:21]
	v_mul_f64 v[26:27], v[146:147], s[24:25]
	s_delay_alu instid0(VALU_DEP_1) | instskip(NEXT) | instid1(VALU_DEP_1)
	v_fma_f64 v[204:205], v[100:101], s[28:29], -v[26:27]
	v_add_f64 v[16:17], v[204:205], v[16:17]
	v_fma_f64 v[204:205], v[102:103], s[28:29], v[208:209]
	s_delay_alu instid0(VALU_DEP_1) | instskip(SKIP_1) | instid1(VALU_DEP_1)
	v_add_f64 v[20:21], v[204:205], v[20:21]
	v_fma_f64 v[204:205], v[112:113], s[38:39], -v[210:211]
	v_add_f64 v[16:17], v[204:205], v[16:17]
	v_fma_f64 v[204:205], v[114:115], s[38:39], v[212:213]
	s_delay_alu instid0(VALU_DEP_1) | instskip(SKIP_1) | instid1(VALU_DEP_1)
	v_add_f64 v[20:21], v[204:205], v[20:21]
	;; [unrolled: 5-line block ×4, first 2 shown]
	v_fma_f64 v[204:205], v[132:133], s[26:27], -v[222:223]
	v_add_f64 v[204:205], v[204:205], v[16:17]
	v_mul_f64 v[16:17], v[140:141], s[20:21]
	s_delay_alu instid0(VALU_DEP_1) | instskip(SKIP_1) | instid1(VALU_DEP_2)
	v_fma_f64 v[206:207], v[134:135], s[26:27], v[16:17]
	v_fma_f64 v[16:17], v[134:135], s[26:27], -v[16:17]
	v_add_f64 v[206:207], v[206:207], v[20:21]
	v_fma_f64 v[20:21], v[104:105], s[18:19], v[22:23]
	v_mul_f64 v[22:23], v[150:151], s[0:1]
	s_delay_alu instid0(VALU_DEP_2) | instskip(SKIP_1) | instid1(VALU_DEP_3)
	v_add_f64 v[6:7], v[20:21], v[6:7]
	v_fma_f64 v[20:21], v[106:107], s[18:19], -v[24:25]
	v_fma_f64 v[24:25], v[104:105], s[8:9], -v[22:23]
	s_delay_alu instid0(VALU_DEP_2) | instskip(SKIP_1) | instid1(VALU_DEP_1)
	v_add_f64 v[18:19], v[20:21], v[18:19]
	v_fma_f64 v[20:21], v[100:101], s[28:29], v[26:27]
	v_add_f64 v[6:7], v[20:21], v[6:7]
	v_fma_f64 v[20:21], v[102:103], s[28:29], -v[208:209]
	s_delay_alu instid0(VALU_DEP_1) | instskip(SKIP_1) | instid1(VALU_DEP_1)
	v_add_f64 v[18:19], v[20:21], v[18:19]
	v_fma_f64 v[20:21], v[112:113], s[38:39], v[210:211]
	v_add_f64 v[6:7], v[20:21], v[6:7]
	v_fma_f64 v[20:21], v[114:115], s[38:39], -v[212:213]
	s_delay_alu instid0(VALU_DEP_1) | instskip(SKIP_1) | instid1(VALU_DEP_1)
	v_add_f64 v[18:19], v[20:21], v[18:19]
	v_fma_f64 v[20:21], v[120:121], s[34:35], v[214:215]
	v_add_f64 v[6:7], v[20:21], v[6:7]
	v_fma_f64 v[20:21], v[122:123], s[34:35], -v[216:217]
	v_mul_f64 v[216:217], v[144:145], s[16:17]
	s_delay_alu instid0(VALU_DEP_2) | instskip(SKIP_2) | instid1(VALU_DEP_2)
	v_add_f64 v[18:19], v[20:21], v[18:19]
	v_fma_f64 v[20:21], v[128:129], s[8:9], v[218:219]
	v_mul_f64 v[218:219], v[118:119], s[58:59]
	v_add_f64 v[6:7], v[20:21], v[6:7]
	v_fma_f64 v[20:21], v[130:131], s[8:9], -v[220:221]
	v_mul_f64 v[220:221], v[116:117], s[58:59]
	s_delay_alu instid0(VALU_DEP_2) | instskip(SKIP_2) | instid1(VALU_DEP_3)
	v_add_f64 v[18:19], v[20:21], v[18:19]
	v_fma_f64 v[20:21], v[132:133], s[26:27], v[222:223]
	v_mul_f64 v[222:223], v[126:127], s[14:15]
	v_add_f64 v[210:211], v[16:17], v[18:19]
	s_delay_alu instid0(VALU_DEP_3) | instskip(SKIP_2) | instid1(VALU_DEP_2)
	v_add_f64 v[208:209], v[20:21], v[6:7]
	v_mul_f64 v[6:7], v[154:155], s[56:57]
	v_mul_f64 v[18:19], v[152:153], s[56:57]
	v_fma_f64 v[16:17], v[96:97], s[40:41], -v[6:7]
	s_delay_alu instid0(VALU_DEP_2) | instskip(SKIP_2) | instid1(VALU_DEP_4)
	v_fma_f64 v[20:21], v[98:99], s[40:41], v[18:19]
	v_fma_f64 v[6:7], v[96:97], s[40:41], v[6:7]
	v_fma_f64 v[18:19], v[98:99], s[40:41], -v[18:19]
	v_add_f64 v[16:17], v[16:17], v[228:229]
	s_delay_alu instid0(VALU_DEP_4)
	v_add_f64 v[20:21], v[20:21], v[230:231]
	v_mul_f64 v[228:229], v[136:137], s[36:37]
	v_mul_f64 v[230:231], v[142:143], s[48:49]
	v_add_f64 v[6:7], v[6:7], v[232:233]
	v_add_f64 v[18:19], v[18:19], v[234:235]
	v_mul_f64 v[232:233], v[136:137], s[50:51]
	v_mul_f64 v[234:235], v[142:143], s[42:43]
	;; [unrolled: 1-line block ×4, first 2 shown]
	v_add_f64 v[16:17], v[24:25], v[16:17]
	v_mul_f64 v[24:25], v[148:149], s[0:1]
	s_delay_alu instid0(VALU_DEP_1) | instskip(NEXT) | instid1(VALU_DEP_1)
	v_fma_f64 v[26:27], v[106:107], s[8:9], v[24:25]
	v_add_f64 v[20:21], v[26:27], v[20:21]
	v_mul_f64 v[26:27], v[146:147], s[16:17]
	s_delay_alu instid0(VALU_DEP_1) | instskip(NEXT) | instid1(VALU_DEP_1)
	v_fma_f64 v[212:213], v[100:101], s[22:23], -v[26:27]
	v_add_f64 v[16:17], v[212:213], v[16:17]
	v_fma_f64 v[212:213], v[102:103], s[22:23], v[216:217]
	s_delay_alu instid0(VALU_DEP_1) | instskip(SKIP_1) | instid1(VALU_DEP_1)
	v_add_f64 v[20:21], v[212:213], v[20:21]
	v_fma_f64 v[212:213], v[112:113], s[34:35], -v[218:219]
	v_add_f64 v[16:17], v[212:213], v[16:17]
	v_fma_f64 v[212:213], v[114:115], s[34:35], v[220:221]
	s_delay_alu instid0(VALU_DEP_1) | instskip(SKIP_1) | instid1(VALU_DEP_1)
	v_add_f64 v[20:21], v[212:213], v[20:21]
	;; [unrolled: 5-line block ×4, first 2 shown]
	v_fma_f64 v[212:213], v[132:133], s[28:29], -v[230:231]
	v_add_f64 v[212:213], v[212:213], v[16:17]
	v_mul_f64 v[16:17], v[140:141], s[48:49]
	s_delay_alu instid0(VALU_DEP_1) | instskip(SKIP_1) | instid1(VALU_DEP_2)
	v_fma_f64 v[214:215], v[134:135], s[28:29], v[16:17]
	v_fma_f64 v[16:17], v[134:135], s[28:29], -v[16:17]
	v_add_f64 v[214:215], v[214:215], v[20:21]
	v_fma_f64 v[20:21], v[104:105], s[8:9], v[22:23]
	v_mul_f64 v[22:23], v[150:151], s[30:31]
	s_delay_alu instid0(VALU_DEP_2) | instskip(SKIP_1) | instid1(VALU_DEP_3)
	v_add_f64 v[6:7], v[20:21], v[6:7]
	v_fma_f64 v[20:21], v[106:107], s[8:9], -v[24:25]
	v_fma_f64 v[24:25], v[104:105], s[34:35], -v[22:23]
	s_delay_alu instid0(VALU_DEP_2) | instskip(SKIP_1) | instid1(VALU_DEP_1)
	v_add_f64 v[18:19], v[20:21], v[18:19]
	v_fma_f64 v[20:21], v[100:101], s[22:23], v[26:27]
	v_add_f64 v[6:7], v[20:21], v[6:7]
	v_fma_f64 v[20:21], v[102:103], s[22:23], -v[216:217]
	s_delay_alu instid0(VALU_DEP_1) | instskip(SKIP_1) | instid1(VALU_DEP_1)
	v_add_f64 v[18:19], v[20:21], v[18:19]
	v_fma_f64 v[20:21], v[112:113], s[34:35], v[218:219]
	v_add_f64 v[6:7], v[20:21], v[6:7]
	v_fma_f64 v[20:21], v[114:115], s[34:35], -v[220:221]
	v_mul_f64 v[220:221], v[144:145], s[52:53]
	v_mul_f64 v[144:145], v[144:145], s[50:51]
	s_delay_alu instid0(VALU_DEP_3) | instskip(SKIP_3) | instid1(VALU_DEP_3)
	v_add_f64 v[18:19], v[20:21], v[18:19]
	v_fma_f64 v[20:21], v[120:121], s[18:19], v[222:223]
	v_mul_f64 v[222:223], v[118:119], s[0:1]
	v_mul_f64 v[118:119], v[118:119], s[20:21]
	v_add_f64 v[6:7], v[20:21], v[6:7]
	v_fma_f64 v[20:21], v[122:123], s[18:19], -v[224:225]
	v_mul_f64 v[224:225], v[116:117], s[0:1]
	v_mul_f64 v[116:117], v[116:117], s[20:21]
	s_delay_alu instid0(VALU_DEP_3) | instskip(SKIP_3) | instid1(VALU_DEP_3)
	v_add_f64 v[18:19], v[20:21], v[18:19]
	v_fma_f64 v[20:21], v[128:129], s[38:39], v[226:227]
	v_mul_f64 v[226:227], v[126:127], s[36:37]
	v_mul_f64 v[126:127], v[126:127], s[48:49]
	v_add_f64 v[6:7], v[20:21], v[6:7]
	v_fma_f64 v[20:21], v[130:131], s[38:39], -v[228:229]
	v_mul_f64 v[228:229], v[124:125], s[36:37]
	v_mul_f64 v[124:125], v[124:125], s[48:49]
	s_delay_alu instid0(VALU_DEP_3) | instskip(SKIP_3) | instid1(VALU_DEP_4)
	v_add_f64 v[18:19], v[20:21], v[18:19]
	v_fma_f64 v[20:21], v[132:133], s[28:29], v[230:231]
	v_mul_f64 v[230:231], v[138:139], s[50:51]
	v_mul_f64 v[138:139], v[138:139], s[42:43]
	v_add_f64 v[218:219], v[16:17], v[18:19]
	s_delay_alu instid0(VALU_DEP_4) | instskip(SKIP_2) | instid1(VALU_DEP_2)
	v_add_f64 v[216:217], v[20:21], v[6:7]
	v_mul_f64 v[6:7], v[154:155], s[48:49]
	v_mul_f64 v[18:19], v[152:153], s[48:49]
	v_fma_f64 v[16:17], v[96:97], s[28:29], -v[6:7]
	s_delay_alu instid0(VALU_DEP_2) | instskip(SKIP_2) | instid1(VALU_DEP_4)
	v_fma_f64 v[20:21], v[98:99], s[28:29], v[18:19]
	v_fma_f64 v[6:7], v[96:97], s[28:29], v[6:7]
	v_fma_f64 v[18:19], v[98:99], s[28:29], -v[18:19]
	v_add_f64 v[16:17], v[16:17], v[202:203]
	s_delay_alu instid0(VALU_DEP_4) | instskip(NEXT) | instid1(VALU_DEP_4)
	v_add_f64 v[20:21], v[20:21], v[200:201]
	v_add_f64 v[6:7], v[6:7], v[174:175]
	s_delay_alu instid0(VALU_DEP_4) | instskip(NEXT) | instid1(VALU_DEP_4)
	v_add_f64 v[18:19], v[18:19], v[170:171]
	v_add_f64 v[16:17], v[24:25], v[16:17]
	v_mul_f64 v[24:25], v[148:149], s[30:31]
	s_delay_alu instid0(VALU_DEP_1) | instskip(NEXT) | instid1(VALU_DEP_1)
	v_fma_f64 v[26:27], v[106:107], s[34:35], v[24:25]
	v_add_f64 v[20:21], v[26:27], v[20:21]
	v_mul_f64 v[26:27], v[146:147], s[52:53]
	s_delay_alu instid0(VALU_DEP_1) | instskip(NEXT) | instid1(VALU_DEP_1)
	v_fma_f64 v[200:201], v[100:101], s[26:27], -v[26:27]
	v_add_f64 v[16:17], v[200:201], v[16:17]
	v_fma_f64 v[200:201], v[102:103], s[26:27], v[220:221]
	s_delay_alu instid0(VALU_DEP_1) | instskip(SKIP_1) | instid1(VALU_DEP_1)
	v_add_f64 v[20:21], v[200:201], v[20:21]
	v_fma_f64 v[200:201], v[112:113], s[8:9], -v[222:223]
	v_add_f64 v[16:17], v[200:201], v[16:17]
	v_fma_f64 v[200:201], v[114:115], s[8:9], v[224:225]
	s_delay_alu instid0(VALU_DEP_1) | instskip(SKIP_1) | instid1(VALU_DEP_1)
	v_add_f64 v[20:21], v[200:201], v[20:21]
	;; [unrolled: 5-line block ×4, first 2 shown]
	v_fma_f64 v[200:201], v[132:133], s[40:41], -v[234:235]
	v_add_f64 v[200:201], v[200:201], v[16:17]
	v_mul_f64 v[16:17], v[140:141], s[42:43]
	v_mul_f64 v[140:141], v[140:141], s[58:59]
	s_delay_alu instid0(VALU_DEP_2) | instskip(SKIP_1) | instid1(VALU_DEP_2)
	v_fma_f64 v[202:203], v[134:135], s[40:41], v[16:17]
	v_fma_f64 v[16:17], v[134:135], s[40:41], -v[16:17]
	v_add_f64 v[202:203], v[202:203], v[20:21]
	v_fma_f64 v[20:21], v[104:105], s[34:35], v[22:23]
	v_mul_f64 v[22:23], v[150:151], s[16:17]
	s_delay_alu instid0(VALU_DEP_2) | instskip(SKIP_1) | instid1(VALU_DEP_3)
	v_add_f64 v[6:7], v[20:21], v[6:7]
	v_fma_f64 v[20:21], v[106:107], s[34:35], -v[24:25]
	v_fma_f64 v[24:25], v[104:105], s[22:23], -v[22:23]
	s_delay_alu instid0(VALU_DEP_2) | instskip(SKIP_1) | instid1(VALU_DEP_1)
	v_add_f64 v[18:19], v[20:21], v[18:19]
	v_fma_f64 v[20:21], v[100:101], s[26:27], v[26:27]
	v_add_f64 v[6:7], v[20:21], v[6:7]
	v_fma_f64 v[20:21], v[102:103], s[26:27], -v[220:221]
	s_delay_alu instid0(VALU_DEP_1) | instskip(SKIP_1) | instid1(VALU_DEP_1)
	v_add_f64 v[18:19], v[20:21], v[18:19]
	v_fma_f64 v[20:21], v[112:113], s[8:9], v[222:223]
	v_add_f64 v[6:7], v[20:21], v[6:7]
	v_fma_f64 v[20:21], v[114:115], s[8:9], -v[224:225]
	s_delay_alu instid0(VALU_DEP_1) | instskip(SKIP_1) | instid1(VALU_DEP_1)
	;; [unrolled: 5-line block ×3, first 2 shown]
	v_add_f64 v[18:19], v[20:21], v[18:19]
	v_fma_f64 v[20:21], v[128:129], s[18:19], v[230:231]
	v_add_f64 v[6:7], v[20:21], v[6:7]
	v_fma_f64 v[20:21], v[130:131], s[18:19], -v[232:233]
	s_delay_alu instid0(VALU_DEP_1) | instskip(SKIP_1) | instid1(VALU_DEP_2)
	v_add_f64 v[18:19], v[20:21], v[18:19]
	v_fma_f64 v[20:21], v[132:133], s[40:41], v[234:235]
	v_add_f64 v[222:223], v[16:17], v[18:19]
	s_delay_alu instid0(VALU_DEP_2) | instskip(SKIP_2) | instid1(VALU_DEP_2)
	v_add_f64 v[220:221], v[20:21], v[6:7]
	v_mul_f64 v[6:7], v[154:155], s[46:47]
	v_mul_f64 v[18:19], v[152:153], s[46:47]
	v_fma_f64 v[16:17], v[96:97], s[8:9], -v[6:7]
	s_delay_alu instid0(VALU_DEP_2) | instskip(SKIP_1) | instid1(VALU_DEP_3)
	v_fma_f64 v[20:21], v[98:99], s[8:9], v[18:19]
	v_fma_f64 v[6:7], v[96:97], s[8:9], v[6:7]
	v_add_f64 v[16:17], v[16:17], v[166:167]
	s_delay_alu instid0(VALU_DEP_3) | instskip(NEXT) | instid1(VALU_DEP_3)
	v_add_f64 v[20:21], v[20:21], v[164:165]
	v_add_f64 v[6:7], v[6:7], v[162:163]
	s_delay_alu instid0(VALU_DEP_3) | instskip(SKIP_1) | instid1(VALU_DEP_1)
	v_add_f64 v[16:17], v[24:25], v[16:17]
	v_mul_f64 v[24:25], v[148:149], s[16:17]
	v_fma_f64 v[26:27], v[106:107], s[22:23], v[24:25]
	s_delay_alu instid0(VALU_DEP_1) | instskip(SKIP_1) | instid1(VALU_DEP_1)
	v_add_f64 v[20:21], v[26:27], v[20:21]
	v_mul_f64 v[26:27], v[146:147], s[50:51]
	v_fma_f64 v[146:147], v[100:101], s[18:19], -v[26:27]
	s_delay_alu instid0(VALU_DEP_1) | instskip(SKIP_1) | instid1(VALU_DEP_1)
	v_add_f64 v[16:17], v[146:147], v[16:17]
	v_fma_f64 v[146:147], v[102:103], s[18:19], v[144:145]
	v_add_f64 v[20:21], v[146:147], v[20:21]
	v_fma_f64 v[146:147], v[112:113], s[26:27], -v[118:119]
	s_delay_alu instid0(VALU_DEP_1) | instskip(SKIP_1) | instid1(VALU_DEP_1)
	v_add_f64 v[16:17], v[146:147], v[16:17]
	v_fma_f64 v[146:147], v[114:115], s[26:27], v[116:117]
	v_add_f64 v[20:21], v[146:147], v[20:21]
	;; [unrolled: 5-line block ×5, first 2 shown]
	v_fma_f64 v[16:17], v[98:99], s[8:9], -v[18:19]
	v_fma_f64 v[18:19], v[104:105], s[22:23], v[22:23]
	v_fma_f64 v[20:21], v[134:135], s[34:35], -v[140:141]
	s_delay_alu instid0(VALU_DEP_3) | instskip(NEXT) | instid1(VALU_DEP_3)
	v_add_f64 v[16:17], v[16:17], v[160:161]
	v_add_f64 v[6:7], v[18:19], v[6:7]
	v_fma_f64 v[18:19], v[106:107], s[22:23], -v[24:25]
	s_delay_alu instid0(VALU_DEP_1) | instskip(SKIP_4) | instid1(VALU_DEP_1)
	v_add_f64 v[16:17], v[18:19], v[16:17]
	v_fma_f64 v[18:19], v[100:101], s[18:19], v[26:27]
	scratch_load_b128 v[24:27], off, off offset:68 ; 16-byte Folded Reload
	v_add_f64 v[6:7], v[18:19], v[6:7]
	v_fma_f64 v[18:19], v[102:103], s[18:19], -v[144:145]
	v_add_f64 v[16:17], v[18:19], v[16:17]
	v_fma_f64 v[18:19], v[112:113], s[26:27], v[118:119]
	s_delay_alu instid0(VALU_DEP_1) | instskip(SKIP_1) | instid1(VALU_DEP_1)
	v_add_f64 v[6:7], v[18:19], v[6:7]
	v_fma_f64 v[18:19], v[114:115], s[26:27], -v[116:117]
	v_add_f64 v[16:17], v[18:19], v[16:17]
	v_fma_f64 v[18:19], v[120:121], s[28:29], v[126:127]
	s_delay_alu instid0(VALU_DEP_1) | instskip(SKIP_1) | instid1(VALU_DEP_1)
	;; [unrolled: 5-line block ×3, first 2 shown]
	v_add_f64 v[6:7], v[18:19], v[6:7]
	v_fma_f64 v[18:19], v[130:131], s[40:41], -v[136:137]
	v_add_f64 v[16:17], v[18:19], v[16:17]
	v_fma_f64 v[18:19], v[132:133], s[34:35], v[142:143]
	s_waitcnt vmcnt(0)
	v_add_f64 v[126:127], v[60:61], v[24:25]
	v_add_f64 v[138:139], v[62:63], v[26:27]
	s_delay_alu instid0(VALU_DEP_4) | instskip(NEXT) | instid1(VALU_DEP_4)
	v_add_f64 v[230:231], v[20:21], v[16:17]
	v_add_f64 v[228:229], v[18:19], v[6:7]
	v_fma_f64 v[6:7], v[96:97], s[26:27], v[236:237]
	v_fma_f64 v[16:17], v[98:99], s[26:27], -v[238:239]
	v_fma_f64 v[18:19], v[104:105], s[38:39], v[240:241]
	s_clause 0x1
	scratch_load_b128 v[20:23], off, off offset:52
	scratch_load_b128 v[236:239], off, off offset:100
	v_add_f64 v[6:7], v[6:7], v[158:159]
	v_add_f64 v[16:17], v[16:17], v[156:157]
	s_delay_alu instid0(VALU_DEP_2) | instskip(SKIP_1) | instid1(VALU_DEP_1)
	v_add_f64 v[6:7], v[18:19], v[6:7]
	v_fma_f64 v[18:19], v[106:107], s[38:39], -v[242:243]
	v_add_f64 v[16:17], v[18:19], v[16:17]
	v_fma_f64 v[18:19], v[100:101], s[40:41], v[244:245]
	s_delay_alu instid0(VALU_DEP_1) | instskip(SKIP_1) | instid1(VALU_DEP_1)
	v_add_f64 v[6:7], v[18:19], v[6:7]
	v_fma_f64 v[18:19], v[102:103], s[40:41], -v[246:247]
	v_add_f64 v[16:17], v[18:19], v[16:17]
	v_fma_f64 v[18:19], v[112:113], s[18:19], v[248:249]
	s_delay_alu instid0(VALU_DEP_1) | instskip(SKIP_1) | instid1(VALU_DEP_1)
	v_add_f64 v[6:7], v[18:19], v[6:7]
	v_fma_f64 v[18:19], v[114:115], s[18:19], -v[250:251]
	v_add_f64 v[16:17], v[18:19], v[16:17]
	v_fma_f64 v[18:19], v[120:121], s[8:9], v[253:254]
	s_delay_alu instid0(VALU_DEP_2) | instskip(NEXT) | instid1(VALU_DEP_2)
	v_add_f64 v[4:5], v[4:5], v[16:17]
	v_add_f64 v[6:7], v[18:19], v[6:7]
	scratch_load_b128 v[16:19], off, off offset:36 ; 16-byte Folded Reload
	s_waitcnt vmcnt(2)
	v_add_f64 v[136:137], v[58:59], -v[22:23]
	v_add_f64 v[142:143], v[56:57], -v[20:21]
	v_add_f64 v[146:147], v[58:59], v[22:23]
	s_waitcnt vmcnt(1)
	v_add_f64 v[116:117], v[52:53], -v[236:237]
	v_add_f64 v[118:119], v[54:55], v[238:239]
	v_add_f64 v[6:7], v[8:9], v[6:7]
	v_fma_f64 v[8:9], v[130:131], s[34:35], -v[12:13]
	v_fma_f64 v[12:13], v[100:101], s[38:39], v[180:181]
	v_add_f64 v[100:101], v[38:39], -v[34:35]
	v_mul_f64 v[154:155], v[136:137], s[24:25]
	v_mul_f64 v[160:161], v[142:143], s[24:25]
	;; [unrolled: 1-line block ×3, first 2 shown]
	v_add_f64 v[4:5], v[8:9], v[4:5]
	v_fma_f64 v[8:9], v[132:133], s[22:23], v[14:15]
	v_fma_f64 v[14:15], v[102:103], s[38:39], -v[182:183]
	v_add_f64 v[102:103], v[40:41], v[28:29]
	s_delay_alu instid0(VALU_DEP_4) | instskip(NEXT) | instid1(VALU_DEP_4)
	v_add_f64 v[234:235], v[10:11], v[4:5]
	v_add_f64 v[232:233], v[8:9], v[6:7]
	v_fma_f64 v[4:5], v[96:97], s[34:35], v[168:169]
	v_fma_f64 v[6:7], v[98:99], s[34:35], -v[172:173]
	v_fma_f64 v[8:9], v[104:105], s[26:27], v[176:177]
	v_fma_f64 v[10:11], v[106:107], s[26:27], -v[178:179]
	v_add_f64 v[106:107], v[42:43], -v[30:31]
	v_add_f64 v[96:97], v[36:37], v[32:33]
	v_mul_f64 v[172:173], v[100:101], s[36:37]
	v_add_f64 v[98:99], v[36:37], -v[32:33]
	v_add_f64 v[104:105], v[38:39], v[34:35]
	v_add_f64 v[4:5], v[4:5], v[108:109]
	;; [unrolled: 1-line block ×3, first 2 shown]
	v_add_f64 v[108:109], v[40:41], -v[28:29]
	v_add_f64 v[110:111], v[42:43], v[30:31]
	v_mul_f64 v[168:169], v[106:107], s[16:17]
	v_mul_f64 v[178:179], v[98:99], s[36:37]
	v_add_f64 v[4:5], v[8:9], v[4:5]
	v_add_f64 v[6:7], v[10:11], v[6:7]
	v_fma_f64 v[8:9], v[112:113], s[22:23], v[184:185]
	v_fma_f64 v[10:11], v[114:115], s[22:23], -v[186:187]
	v_add_f64 v[114:115], v[54:55], -v[238:239]
	v_add_f64 v[112:113], v[52:53], v[236:237]
	v_mul_f64 v[176:177], v[108:109], s[16:17]
	v_add_f64 v[4:5], v[12:13], v[4:5]
	v_add_f64 v[6:7], v[14:15], v[6:7]
	scratch_load_b128 v[12:15], off, off offset:20 ; 16-byte Folded Reload
	v_mul_f64 v[166:167], v[114:115], s[20:21]
	v_add_f64 v[4:5], v[8:9], v[4:5]
	v_add_f64 v[6:7], v[10:11], v[6:7]
	v_fma_f64 v[8:9], v[120:121], s[40:41], v[188:189]
	v_fma_f64 v[10:11], v[122:123], s[40:41], -v[190:191]
	s_delay_alu instid0(VALU_DEP_2) | instskip(NEXT) | instid1(VALU_DEP_2)
	v_add_f64 v[4:5], v[8:9], v[4:5]
	v_add_f64 v[6:7], v[10:11], v[6:7]
	v_fma_f64 v[8:9], v[128:129], s[28:29], v[192:193]
	v_fma_f64 v[10:11], v[130:131], s[28:29], -v[194:195]
	v_add_f64 v[128:129], v[62:63], -v[26:27]
	s_waitcnt vmcnt(1)
	v_add_f64 v[144:145], v[50:51], -v[18:19]
	v_add_f64 v[140:141], v[48:49], v[16:17]
	v_add_f64 v[148:149], v[48:49], -v[16:17]
	v_add_f64 v[150:151], v[50:51], v[18:19]
	v_add_f64 v[4:5], v[8:9], v[4:5]
	;; [unrolled: 1-line block ×3, first 2 shown]
	v_fma_f64 v[8:9], v[132:133], s[8:9], v[196:197]
	v_fma_f64 v[10:11], v[134:135], s[8:9], -v[198:199]
	scratch_load_b128 v[196:199], off, off offset:84 ; 16-byte Folded Reload
	v_add_f64 v[134:135], v[56:57], v[20:21]
	v_mul_f64 v[158:159], v[128:129], s[30:31]
	v_add_f64 v[132:133], v[60:61], -v[24:25]
	v_mul_f64 v[152:153], v[144:145], s[14:15]
	v_mul_f64 v[156:157], v[148:149], s[14:15]
	v_add_f64 v[192:193], v[8:9], v[4:5]
	v_add_f64 v[194:195], v[10:11], v[6:7]
	v_mul_f64 v[164:165], v[132:133], s[30:31]
	v_fma_f64 v[6:7], v[140:141], s[18:19], v[152:153]
	v_fma_f64 v[8:9], v[150:151], s[18:19], -v[156:157]
	s_waitcnt vmcnt(1)
	v_add_f64 v[184:185], v[46:47], -v[14:15]
	v_add_f64 v[180:181], v[44:45], v[12:13]
	v_add_f64 v[188:189], v[44:45], -v[12:13]
	v_add_f64 v[186:187], v[46:47], v[14:15]
	s_delay_alu instid0(VALU_DEP_4) | instskip(NEXT) | instid1(VALU_DEP_3)
	v_mul_f64 v[182:183], v[184:185], s[0:1]
	v_mul_f64 v[190:191], v[188:189], s[0:1]
	s_delay_alu instid0(VALU_DEP_2) | instskip(NEXT) | instid1(VALU_DEP_1)
	v_fma_f64 v[4:5], v[180:181], s[8:9], v[182:183]
	v_add_f64 v[4:5], v[0:1], v[4:5]
	s_waitcnt vmcnt(0)
	v_add_f64 v[122:123], v[66:67], -v[198:199]
	v_add_f64 v[120:121], v[64:65], v[196:197]
	v_add_f64 v[124:125], v[64:65], -v[196:197]
	v_add_f64 v[130:131], v[66:67], v[198:199]
	v_add_f64 v[4:5], v[6:7], v[4:5]
	v_fma_f64 v[6:7], v[186:187], s[8:9], -v[190:191]
	v_mul_f64 v[162:163], v[122:123], s[42:43]
	v_mul_f64 v[170:171], v[124:125], s[42:43]
	s_delay_alu instid0(VALU_DEP_3) | instskip(NEXT) | instid1(VALU_DEP_1)
	v_add_f64 v[6:7], v[2:3], v[6:7]
	v_add_f64 v[6:7], v[8:9], v[6:7]
	v_fma_f64 v[8:9], v[134:135], s[28:29], v[154:155]
	s_delay_alu instid0(VALU_DEP_1) | instskip(SKIP_1) | instid1(VALU_DEP_1)
	v_add_f64 v[4:5], v[8:9], v[4:5]
	v_fma_f64 v[8:9], v[146:147], s[28:29], -v[160:161]
	v_add_f64 v[6:7], v[8:9], v[6:7]
	v_fma_f64 v[8:9], v[126:127], s[34:35], v[158:159]
	s_delay_alu instid0(VALU_DEP_1) | instskip(SKIP_1) | instid1(VALU_DEP_1)
	v_add_f64 v[4:5], v[8:9], v[4:5]
	v_fma_f64 v[8:9], v[138:139], s[34:35], -v[164:165]
	;; [unrolled: 5-line block ×6, first 2 shown]
	v_add_f64 v[10:11], v[4:5], v[6:7]
	scratch_load_b32 v5, off, off           ; 4-byte Folded Reload
	scratch_store_b128 off, v[8:11], off offset:4 ; 16-byte Folded Spill
	s_waitcnt vmcnt(0)
	s_waitcnt_vscnt null, 0x0
	s_barrier
	buffer_gl0_inv
	v_mul_lo_u16 v4, v5, 17
	s_delay_alu instid0(VALU_DEP_1) | instskip(NEXT) | instid1(VALU_DEP_1)
	v_and_b32_e32 v4, 0xffff, v4
	v_lshlrev_b32_e32 v253, 4, v4
	ds_store_b128 v253, v[72:75]
	ds_store_b128 v253, v[76:79] offset:16
	ds_store_b128 v253, v[80:83] offset:32
	;; [unrolled: 1-line block ×16, first 2 shown]
	v_add_co_u32 v234, s33, v5, 51
	s_delay_alu instid0(VALU_DEP_1)
	v_add_co_ci_u32_e64 v4, null, 0, 0, s33
	s_and_saveexec_b32 s33, vcc_lo
	s_cbranch_execz .LBB0_7
; %bb.6:
	v_add_f64 v[4:5], v[2:3], v[46:47]
	v_add_f64 v[6:7], v[0:1], v[44:45]
	v_mul_f64 v[44:45], v[184:185], s[42:43]
	v_mul_f64 v[46:47], v[184:185], s[30:31]
	;; [unrolled: 1-line block ×10, first 2 shown]
	v_add_f64 v[4:5], v[4:5], v[50:51]
	v_add_f64 v[6:7], v[6:7], v[48:49]
	v_mul_f64 v[48:49], v[184:185], s[24:25]
	v_mul_f64 v[50:51], v[184:185], s[14:15]
	v_fma_f64 v[210:211], v[126:127], s[28:29], v[202:203]
	v_fma_f64 v[202:203], v[126:127], s[28:29], -v[202:203]
	v_fma_f64 v[212:213], v[126:127], s[8:9], -v[204:205]
	v_fma_f64 v[204:205], v[126:127], s[8:9], v[204:205]
	v_fma_f64 v[214:215], v[126:127], s[40:41], -v[206:207]
	v_fma_f64 v[206:207], v[126:127], s[40:41], v[206:207]
	v_fma_f64 v[226:227], v[124:125], s[54:55], v[218:219]
	;; [unrolled: 1-line block ×7, first 2 shown]
	v_add_f64 v[4:5], v[4:5], v[58:59]
	v_add_f64 v[6:7], v[6:7], v[56:57]
	v_fma_f64 v[58:59], v[180:181], s[40:41], v[44:45]
	v_fma_f64 v[44:45], v[180:181], s[40:41], -v[44:45]
	s_delay_alu instid0(VALU_DEP_4) | instskip(NEXT) | instid1(VALU_DEP_4)
	v_add_f64 v[4:5], v[4:5], v[62:63]
	v_add_f64 v[6:7], v[6:7], v[60:61]
	v_fma_f64 v[60:61], v[180:181], s[34:35], v[46:47]
	v_fma_f64 v[46:47], v[180:181], s[34:35], -v[46:47]
	v_fma_f64 v[62:63], v[180:181], s[28:29], v[48:49]
	v_fma_f64 v[48:49], v[180:181], s[28:29], -v[48:49]
	v_add_f64 v[58:59], v[0:1], v[58:59]
	v_add_f64 v[44:45], v[0:1], v[44:45]
	;; [unrolled: 1-line block ×4, first 2 shown]
	v_mul_f64 v[66:67], v[180:181], s[8:9]
	v_fma_f64 v[64:65], v[180:181], s[18:19], v[50:51]
	v_fma_f64 v[50:51], v[180:181], s[18:19], -v[50:51]
	v_add_f64 v[60:61], v[0:1], v[60:61]
	v_add_f64 v[46:47], v[0:1], v[46:47]
	v_add_f64 v[62:63], v[0:1], v[62:63]
	v_add_f64 v[48:49], v[0:1], v[48:49]
	v_add_f64 v[4:5], v[4:5], v[54:55]
	v_add_f64 v[6:7], v[6:7], v[52:53]
	v_add_f64 v[66:67], v[66:67], -v[182:183]
	v_add_f64 v[64:65], v[0:1], v[64:65]
	v_add_f64 v[50:51], v[0:1], v[50:51]
	;; [unrolled: 1-line block ×4, first 2 shown]
	v_mul_f64 v[40:41], v[184:185], s[16:17]
	v_mul_f64 v[42:43], v[184:185], s[20:21]
	s_delay_alu instid0(VALU_DEP_4) | instskip(NEXT) | instid1(VALU_DEP_4)
	v_add_f64 v[4:5], v[4:5], v[38:39]
	v_add_f64 v[6:7], v[6:7], v[36:37]
	v_mul_f64 v[38:39], v[184:185], s[36:37]
	v_fma_f64 v[54:55], v[180:181], s[22:23], v[40:41]
	v_fma_f64 v[40:41], v[180:181], s[22:23], -v[40:41]
	v_fma_f64 v[56:57], v[180:181], s[26:27], v[42:43]
	v_fma_f64 v[42:43], v[180:181], s[26:27], -v[42:43]
	v_mul_f64 v[36:37], v[186:187], s[8:9]
	v_add_f64 v[4:5], v[4:5], v[34:35]
	v_add_f64 v[6:7], v[6:7], v[32:33]
	v_fma_f64 v[52:53], v[180:181], s[38:39], v[38:39]
	v_fma_f64 v[38:39], v[180:181], s[38:39], -v[38:39]
	v_mul_f64 v[32:33], v[186:187], s[18:19]
	v_add_f64 v[54:55], v[0:1], v[54:55]
	v_add_f64 v[40:41], v[0:1], v[40:41]
	;; [unrolled: 1-line block ×5, first 2 shown]
	v_mul_f64 v[190:191], v[138:139], s[40:41]
	v_add_f64 v[4:5], v[4:5], v[30:31]
	v_add_f64 v[6:7], v[6:7], v[28:29]
	v_mul_f64 v[28:29], v[186:187], s[28:29]
	v_add_f64 v[52:53], v[0:1], v[52:53]
	v_add_f64 v[38:39], v[0:1], v[38:39]
	v_fma_f64 v[34:35], v[188:189], s[50:51], v[32:33]
	v_fma_f64 v[32:33], v[188:189], s[14:15], v[32:33]
	v_add_f64 v[4:5], v[4:5], v[238:239]
	v_add_f64 v[6:7], v[6:7], v[236:237]
	v_fma_f64 v[30:31], v[188:189], s[48:49], v[28:29]
	v_fma_f64 v[28:29], v[188:189], s[24:25], v[28:29]
	v_add_f64 v[34:35], v[2:3], v[34:35]
	v_add_f64 v[32:33], v[2:3], v[32:33]
	;; [unrolled: 1-line block ×6, first 2 shown]
	v_fma_f64 v[198:199], v[132:133], s[56:57], v[190:191]
	v_fma_f64 v[190:191], v[132:133], s[42:43], v[190:191]
	v_add_f64 v[4:5], v[4:5], v[26:27]
	v_add_f64 v[6:7], v[6:7], v[24:25]
	v_mul_f64 v[24:25], v[186:187], s[34:35]
	s_delay_alu instid0(VALU_DEP_3) | instskip(NEXT) | instid1(VALU_DEP_3)
	v_add_f64 v[4:5], v[4:5], v[22:23]
	v_add_f64 v[6:7], v[6:7], v[20:21]
	v_mul_f64 v[20:21], v[186:187], s[40:41]
	s_delay_alu instid0(VALU_DEP_4)
	v_fma_f64 v[26:27], v[188:189], s[58:59], v[24:25]
	v_fma_f64 v[24:25], v[188:189], s[30:31], v[24:25]
	v_add_f64 v[4:5], v[4:5], v[18:19]
	v_add_f64 v[8:9], v[6:7], v[16:17]
	v_mul_f64 v[16:17], v[186:187], s[26:27]
	v_fma_f64 v[22:23], v[188:189], s[56:57], v[20:21]
	v_fma_f64 v[20:21], v[188:189], s[42:43], v[20:21]
	v_add_f64 v[26:27], v[2:3], v[26:27]
	v_add_f64 v[24:25], v[2:3], v[24:25]
	;; [unrolled: 1-line block ×4, first 2 shown]
	v_mul_f64 v[12:13], v[186:187], s[22:23]
	v_mul_f64 v[8:9], v[186:187], s[38:39]
	v_fma_f64 v[18:19], v[188:189], s[52:53], v[16:17]
	v_fma_f64 v[16:17], v[188:189], s[20:21], v[16:17]
	v_add_f64 v[74:75], v[2:3], v[22:23]
	v_add_f64 v[22:23], v[0:1], v[66:67]
	;; [unrolled: 1-line block ×4, first 2 shown]
	v_mul_f64 v[186:187], v[138:139], s[28:29]
	v_fma_f64 v[14:15], v[188:189], s[44:45], v[12:13]
	v_fma_f64 v[12:13], v[188:189], s[16:17], v[12:13]
	;; [unrolled: 1-line block ×3, first 2 shown]
	v_add_f64 v[72:73], v[2:3], v[16:17]
	v_mul_f64 v[16:17], v[146:147], s[22:23]
	v_fma_f64 v[8:9], v[188:189], s[36:37], v[8:9]
	v_add_f64 v[70:71], v[2:3], v[18:19]
	v_mul_f64 v[188:189], v[138:139], s[8:9]
	v_fma_f64 v[194:195], v[132:133], s[48:49], v[186:187]
	v_fma_f64 v[186:187], v[132:133], s[24:25], v[186:187]
	v_add_f64 v[14:15], v[2:3], v[14:15]
	v_add_f64 v[68:69], v[2:3], v[12:13]
	v_mul_f64 v[12:13], v[150:151], s[8:9]
	v_add_f64 v[10:11], v[2:3], v[10:11]
	v_fma_f64 v[18:19], v[142:143], s[44:45], v[16:17]
	v_add_f64 v[8:9], v[2:3], v[8:9]
	v_fma_f64 v[196:197], v[132:133], s[46:47], v[188:189]
	v_fma_f64 v[188:189], v[132:133], s[0:1], v[188:189]
	;; [unrolled: 1-line block ×4, first 2 shown]
	s_delay_alu instid0(VALU_DEP_2) | instskip(SKIP_1) | instid1(VALU_DEP_3)
	v_add_f64 v[0:1], v[0:1], v[10:11]
	v_mul_f64 v[10:11], v[144:145], s[46:47]
	v_add_f64 v[8:9], v[12:13], v[8:9]
	v_fma_f64 v[12:13], v[142:143], s[16:17], v[16:17]
	v_fma_f64 v[16:17], v[96:97], s[34:35], -v[92:93]
	v_add_f64 v[0:1], v[18:19], v[0:1]
	v_fma_f64 v[2:3], v[140:141], s[8:9], v[10:11]
	v_mul_f64 v[18:19], v[136:137], s[16:17]
	v_fma_f64 v[10:11], v[140:141], s[8:9], -v[10:11]
	v_add_f64 v[8:9], v[12:13], v[8:9]
	s_delay_alu instid0(VALU_DEP_4) | instskip(NEXT) | instid1(VALU_DEP_4)
	v_add_f64 v[2:3], v[2:3], v[52:53]
	v_fma_f64 v[36:37], v[134:135], s[22:23], v[18:19]
	s_delay_alu instid0(VALU_DEP_4) | instskip(SKIP_2) | instid1(VALU_DEP_4)
	v_add_f64 v[10:11], v[10:11], v[38:39]
	v_fma_f64 v[12:13], v[134:135], s[22:23], -v[18:19]
	v_mul_f64 v[18:19], v[144:145], s[48:49]
	v_add_f64 v[2:3], v[36:37], v[2:3]
	v_mul_f64 v[36:37], v[138:139], s[18:19]
	s_delay_alu instid0(VALU_DEP_4) | instskip(NEXT) | instid1(VALU_DEP_2)
	v_add_f64 v[10:11], v[12:13], v[10:11]
	v_fma_f64 v[52:53], v[132:133], s[14:15], v[36:37]
	v_fma_f64 v[12:13], v[132:133], s[50:51], v[36:37]
	v_mul_f64 v[36:37], v[146:147], s[34:35]
	s_delay_alu instid0(VALU_DEP_3) | instskip(SKIP_1) | instid1(VALU_DEP_4)
	v_add_f64 v[0:1], v[52:53], v[0:1]
	v_mul_f64 v[52:53], v[128:129], s[50:51]
	v_add_f64 v[8:9], v[12:13], v[8:9]
	s_delay_alu instid0(VALU_DEP_4) | instskip(SKIP_1) | instid1(VALU_DEP_4)
	v_fma_f64 v[38:39], v[142:143], s[58:59], v[36:37]
	v_fma_f64 v[36:37], v[142:143], s[30:31], v[36:37]
	;; [unrolled: 1-line block ×3, first 2 shown]
	v_fma_f64 v[12:13], v[126:127], s[18:19], -v[52:53]
	s_delay_alu instid0(VALU_DEP_2) | instskip(SKIP_1) | instid1(VALU_DEP_3)
	v_add_f64 v[2:3], v[66:67], v[2:3]
	v_mul_f64 v[66:67], v[130:131], s[26:27]
	v_add_f64 v[10:11], v[12:13], v[10:11]
	s_delay_alu instid0(VALU_DEP_2) | instskip(SKIP_1) | instid1(VALU_DEP_2)
	v_fma_f64 v[78:79], v[124:125], s[52:53], v[66:67]
	v_fma_f64 v[12:13], v[124:125], s[20:21], v[66:67]
	v_add_f64 v[0:1], v[78:79], v[0:1]
	v_mul_f64 v[78:79], v[122:123], s[20:21]
	s_delay_alu instid0(VALU_DEP_3) | instskip(NEXT) | instid1(VALU_DEP_2)
	v_add_f64 v[8:9], v[12:13], v[8:9]
	v_fma_f64 v[80:81], v[120:121], s[26:27], v[78:79]
	v_fma_f64 v[12:13], v[120:121], s[26:27], -v[78:79]
	s_delay_alu instid0(VALU_DEP_2) | instskip(SKIP_1) | instid1(VALU_DEP_3)
	v_add_f64 v[2:3], v[80:81], v[2:3]
	v_mul_f64 v[80:81], v[118:119], s[28:29]
	v_add_f64 v[10:11], v[12:13], v[10:11]
	s_delay_alu instid0(VALU_DEP_2) | instskip(SKIP_1) | instid1(VALU_DEP_2)
	v_fma_f64 v[82:83], v[116:117], s[24:25], v[80:81]
	v_fma_f64 v[12:13], v[116:117], s[48:49], v[80:81]
	v_add_f64 v[0:1], v[82:83], v[0:1]
	v_mul_f64 v[82:83], v[114:115], s[48:49]
	s_delay_alu instid0(VALU_DEP_3) | instskip(NEXT) | instid1(VALU_DEP_2)
	v_add_f64 v[8:9], v[12:13], v[8:9]
	v_fma_f64 v[84:85], v[112:113], s[28:29], v[82:83]
	v_fma_f64 v[12:13], v[112:113], s[28:29], -v[82:83]
	s_delay_alu instid0(VALU_DEP_2) | instskip(SKIP_1) | instid1(VALU_DEP_3)
	v_add_f64 v[2:3], v[84:85], v[2:3]
	v_mul_f64 v[84:85], v[110:111], s[40:41]
	v_add_f64 v[10:11], v[12:13], v[10:11]
	s_delay_alu instid0(VALU_DEP_2) | instskip(SKIP_1) | instid1(VALU_DEP_2)
	v_fma_f64 v[86:87], v[108:109], s[56:57], v[84:85]
	v_fma_f64 v[12:13], v[108:109], s[42:43], v[84:85]
	v_add_f64 v[0:1], v[86:87], v[0:1]
	v_mul_f64 v[86:87], v[106:107], s[42:43]
	s_delay_alu instid0(VALU_DEP_3) | instskip(NEXT) | instid1(VALU_DEP_2)
	v_add_f64 v[8:9], v[12:13], v[8:9]
	v_fma_f64 v[12:13], v[102:103], s[40:41], -v[86:87]
	v_fma_f64 v[88:89], v[102:103], s[40:41], v[86:87]
	s_delay_alu instid0(VALU_DEP_2) | instskip(SKIP_1) | instid1(VALU_DEP_3)
	v_add_f64 v[12:13], v[12:13], v[10:11]
	v_fma_f64 v[10:11], v[98:99], s[58:59], v[90:91]
	v_add_f64 v[88:89], v[88:89], v[2:3]
	v_fma_f64 v[2:3], v[98:99], s[30:31], v[90:91]
	v_mul_f64 v[90:91], v[104:105], s[40:41]
	s_delay_alu instid0(VALU_DEP_4)
	v_add_f64 v[10:11], v[10:11], v[8:9]
	v_add_f64 v[8:9], v[16:17], v[12:13]
	v_mul_f64 v[16:17], v[150:151], s[28:29]
	v_add_f64 v[2:3], v[2:3], v[0:1]
	v_fma_f64 v[0:1], v[96:97], s[34:35], v[92:93]
	v_mul_f64 v[92:93], v[100:101], s[42:43]
	s_delay_alu instid0(VALU_DEP_4) | instskip(SKIP_1) | instid1(VALU_DEP_4)
	v_fma_f64 v[12:13], v[148:149], s[24:25], v[16:17]
	v_fma_f64 v[16:17], v[148:149], s[48:49], v[16:17]
	v_add_f64 v[0:1], v[0:1], v[88:89]
	s_delay_alu instid0(VALU_DEP_3) | instskip(SKIP_1) | instid1(VALU_DEP_4)
	v_add_f64 v[12:13], v[12:13], v[14:15]
	v_fma_f64 v[14:15], v[140:141], s[28:29], v[18:19]
	v_add_f64 v[16:17], v[16:17], v[68:69]
	v_fma_f64 v[18:19], v[140:141], s[28:29], -v[18:19]
	v_mul_f64 v[68:69], v[130:131], s[40:41]
	v_add_f64 v[12:13], v[38:39], v[12:13]
	v_mul_f64 v[38:39], v[136:137], s[30:31]
	v_add_f64 v[14:15], v[14:15], v[54:55]
	v_add_f64 v[18:19], v[18:19], v[40:41]
	;; [unrolled: 1-line block ×3, first 2 shown]
	v_mul_f64 v[40:41], v[146:147], s[28:29]
	v_add_f64 v[68:69], v[170:171], v[68:69]
	v_mul_f64 v[170:171], v[136:137], s[50:51]
	v_fma_f64 v[52:53], v[134:135], s[34:35], v[38:39]
	v_fma_f64 v[36:37], v[134:135], s[34:35], -v[38:39]
	v_fma_f64 v[38:39], v[96:97], s[40:41], -v[92:93]
	v_add_f64 v[40:41], v[160:161], v[40:41]
	s_delay_alu instid0(VALU_DEP_4) | instskip(SKIP_2) | instid1(VALU_DEP_2)
	v_add_f64 v[14:15], v[52:53], v[14:15]
	v_mul_f64 v[52:53], v[138:139], s[26:27]
	v_add_f64 v[18:19], v[36:37], v[18:19]
	v_fma_f64 v[54:55], v[132:133], s[20:21], v[52:53]
	v_fma_f64 v[36:37], v[132:133], s[52:53], v[52:53]
	v_mul_f64 v[52:53], v[134:135], s[28:29]
	s_delay_alu instid0(VALU_DEP_3) | instskip(SKIP_1) | instid1(VALU_DEP_4)
	v_add_f64 v[12:13], v[54:55], v[12:13]
	v_mul_f64 v[54:55], v[128:129], s[52:53]
	v_add_f64 v[16:17], v[36:37], v[16:17]
	s_delay_alu instid0(VALU_DEP_4) | instskip(SKIP_1) | instid1(VALU_DEP_4)
	v_add_f64 v[52:53], v[52:53], -v[154:155]
	v_mul_f64 v[154:155], v[146:147], s[18:19]
	v_fma_f64 v[66:67], v[126:127], s[26:27], v[54:55]
	v_fma_f64 v[36:37], v[126:127], s[26:27], -v[54:55]
	v_mul_f64 v[54:55], v[138:139], s[34:35]
	s_delay_alu instid0(VALU_DEP_3) | instskip(SKIP_1) | instid1(VALU_DEP_4)
	v_add_f64 v[14:15], v[66:67], v[14:15]
	v_mul_f64 v[66:67], v[130:131], s[8:9]
	v_add_f64 v[18:19], v[36:37], v[18:19]
	s_delay_alu instid0(VALU_DEP_4) | instskip(NEXT) | instid1(VALU_DEP_3)
	v_add_f64 v[54:55], v[164:165], v[54:55]
	v_fma_f64 v[78:79], v[124:125], s[46:47], v[66:67]
	v_fma_f64 v[36:37], v[124:125], s[0:1], v[66:67]
	v_mul_f64 v[66:67], v[126:127], s[34:35]
	s_delay_alu instid0(VALU_DEP_3) | instskip(SKIP_1) | instid1(VALU_DEP_4)
	v_add_f64 v[12:13], v[78:79], v[12:13]
	v_mul_f64 v[78:79], v[122:123], s[0:1]
	v_add_f64 v[16:17], v[36:37], v[16:17]
	s_delay_alu instid0(VALU_DEP_4) | instskip(SKIP_1) | instid1(VALU_DEP_4)
	v_add_f64 v[66:67], v[66:67], -v[158:159]
	v_mul_f64 v[158:159], v[146:147], s[38:39]
	v_fma_f64 v[80:81], v[120:121], s[8:9], v[78:79]
	v_fma_f64 v[36:37], v[120:121], s[8:9], -v[78:79]
	v_mul_f64 v[78:79], v[120:121], s[40:41]
	s_delay_alu instid0(VALU_DEP_3) | instskip(SKIP_1) | instid1(VALU_DEP_4)
	v_add_f64 v[14:15], v[80:81], v[14:15]
	v_mul_f64 v[80:81], v[118:119], s[38:39]
	v_add_f64 v[18:19], v[36:37], v[18:19]
	s_delay_alu instid0(VALU_DEP_4)
	v_add_f64 v[78:79], v[78:79], -v[162:163]
	v_fma_f64 v[162:163], v[142:143], s[14:15], v[154:155]
	v_fma_f64 v[154:155], v[142:143], s[50:51], v[154:155]
	;; [unrolled: 1-line block ×4, first 2 shown]
	v_mul_f64 v[80:81], v[118:119], s[26:27]
	s_delay_alu instid0(VALU_DEP_3) | instskip(SKIP_1) | instid1(VALU_DEP_4)
	v_add_f64 v[12:13], v[82:83], v[12:13]
	v_mul_f64 v[82:83], v[114:115], s[36:37]
	v_add_f64 v[16:17], v[36:37], v[16:17]
	s_delay_alu instid0(VALU_DEP_4) | instskip(SKIP_1) | instid1(VALU_DEP_4)
	v_add_f64 v[80:81], v[174:175], v[80:81]
	v_mul_f64 v[174:175], v[136:137], s[54:55]
	v_fma_f64 v[84:85], v[112:113], s[38:39], v[82:83]
	v_fma_f64 v[36:37], v[112:113], s[38:39], -v[82:83]
	s_delay_alu instid0(VALU_DEP_3) | instskip(SKIP_1) | instid1(VALU_DEP_4)
	v_fma_f64 v[182:183], v[134:135], s[38:39], -v[174:175]
	v_fma_f64 v[174:175], v[134:135], s[38:39], v[174:175]
	v_add_f64 v[14:15], v[84:85], v[14:15]
	v_mul_f64 v[84:85], v[110:111], s[18:19]
	v_add_f64 v[18:19], v[36:37], v[18:19]
	s_delay_alu instid0(VALU_DEP_2) | instskip(SKIP_2) | instid1(VALU_DEP_3)
	v_fma_f64 v[86:87], v[108:109], s[14:15], v[84:85]
	v_fma_f64 v[36:37], v[108:109], s[50:51], v[84:85]
	v_mul_f64 v[84:85], v[144:145], s[56:57]
	v_add_f64 v[12:13], v[86:87], v[12:13]
	v_mul_f64 v[86:87], v[106:107], s[50:51]
	s_delay_alu instid0(VALU_DEP_4) | instskip(NEXT) | instid1(VALU_DEP_4)
	v_add_f64 v[16:17], v[36:37], v[16:17]
	v_fma_f64 v[94:95], v[140:141], s[40:41], v[84:85]
	v_fma_f64 v[84:85], v[140:141], s[40:41], -v[84:85]
	s_delay_alu instid0(VALU_DEP_4)
	v_fma_f64 v[36:37], v[102:103], s[18:19], -v[86:87]
	v_fma_f64 v[88:89], v[102:103], s[18:19], v[86:87]
	v_mul_f64 v[86:87], v[144:145], s[44:45]
	v_add_f64 v[56:57], v[94:95], v[56:57]
	v_add_f64 v[42:43], v[84:85], v[42:43]
	;; [unrolled: 1-line block ×3, first 2 shown]
	v_fma_f64 v[18:19], v[98:99], s[42:43], v[90:91]
	v_add_f64 v[88:89], v[88:89], v[14:15]
	v_fma_f64 v[14:15], v[98:99], s[56:57], v[90:91]
	v_mul_f64 v[90:91], v[144:145], s[20:21]
	s_delay_alu instid0(VALU_DEP_4)
	v_add_f64 v[18:19], v[18:19], v[16:17]
	v_add_f64 v[16:17], v[38:39], v[36:37]
	v_mul_f64 v[36:37], v[150:151], s[18:19]
	v_mul_f64 v[38:39], v[140:141], s[18:19]
	v_add_f64 v[14:15], v[14:15], v[12:13]
	v_fma_f64 v[12:13], v[96:97], s[40:41], v[92:93]
	v_mul_f64 v[92:93], v[144:145], s[30:31]
	v_add_f64 v[36:37], v[156:157], v[36:37]
	v_add_f64 v[38:39], v[38:39], -v[152:153]
	v_mul_f64 v[156:157], v[146:147], s[40:41]
	v_add_f64 v[12:13], v[12:13], v[88:89]
	v_mul_f64 v[88:89], v[144:145], s[36:37]
	v_fma_f64 v[144:145], v[140:141], s[22:23], v[86:87]
	v_fma_f64 v[86:87], v[140:141], s[22:23], -v[86:87]
	v_fma_f64 v[152:153], v[140:141], s[34:35], -v[92:93]
	v_fma_f64 v[92:93], v[140:141], s[34:35], v[92:93]
	v_add_f64 v[20:21], v[36:37], v[20:21]
	v_add_f64 v[22:23], v[38:39], v[22:23]
	v_mul_f64 v[36:37], v[112:113], s[26:27]
	v_mul_f64 v[38:39], v[110:111], s[22:23]
	v_fma_f64 v[164:165], v[142:143], s[56:57], v[156:157]
	v_fma_f64 v[156:157], v[142:143], s[42:43], v[156:157]
	v_add_f64 v[44:45], v[86:87], v[44:45]
	v_add_f64 v[58:59], v[144:145], v[58:59]
	v_mul_f64 v[86:87], v[118:119], s[34:35]
	v_add_f64 v[20:21], v[40:41], v[20:21]
	v_add_f64 v[22:23], v[52:53], v[22:23]
	v_add_f64 v[36:37], v[36:37], -v[166:167]
	v_mul_f64 v[40:41], v[102:103], s[22:23]
	v_add_f64 v[38:39], v[176:177], v[38:39]
	v_mul_f64 v[52:53], v[104:105], s[38:39]
	v_fma_f64 v[166:167], v[142:143], s[54:55], v[158:159]
	v_fma_f64 v[158:159], v[142:143], s[36:37], v[158:159]
	v_add_f64 v[20:21], v[54:55], v[20:21]
	v_add_f64 v[22:23], v[66:67], v[22:23]
	v_mul_f64 v[54:55], v[150:151], s[34:35]
	v_add_f64 v[40:41], v[40:41], -v[168:169]
	v_add_f64 v[52:53], v[178:179], v[52:53]
	v_fma_f64 v[178:179], v[134:135], s[18:19], v[170:171]
	v_fma_f64 v[170:171], v[134:135], s[18:19], -v[170:171]
	v_add_f64 v[20:21], v[68:69], v[20:21]
	v_add_f64 v[22:23], v[78:79], v[22:23]
	v_fma_f64 v[82:83], v[148:149], s[30:31], v[54:55]
	v_fma_f64 v[54:55], v[148:149], s[58:59], v[54:55]
	v_add_f64 v[58:59], v[178:179], v[58:59]
	v_add_f64 v[44:45], v[170:171], v[44:45]
	;; [unrolled: 1-line block ×4, first 2 shown]
	v_mul_f64 v[36:37], v[96:97], s[38:39]
	v_add_f64 v[34:35], v[54:55], v[34:35]
	v_add_f64 v[54:55], v[92:93], v[64:65]
	v_mul_f64 v[92:93], v[118:119], s[40:41]
	v_add_f64 v[32:33], v[82:83], v[32:33]
	v_add_f64 v[44:45], v[202:203], v[44:45]
	;; [unrolled: 1-line block ×5, first 2 shown]
	v_add_f64 v[36:37], v[36:37], -v[172:173]
	v_mul_f64 v[40:41], v[150:151], s[38:39]
	v_mul_f64 v[172:173], v[136:137], s[56:57]
	v_add_f64 v[22:23], v[52:53], v[20:21]
	v_mul_f64 v[52:53], v[150:151], s[26:27]
	v_add_f64 v[20:21], v[36:37], v[38:39]
	v_mul_f64 v[36:37], v[150:151], s[40:41]
	v_mul_f64 v[38:39], v[150:151], s[22:23]
	v_fma_f64 v[78:79], v[148:149], s[54:55], v[40:41]
	v_fma_f64 v[40:41], v[148:149], s[36:37], v[40:41]
	;; [unrolled: 1-line block ×3, first 2 shown]
	v_fma_f64 v[90:91], v[140:141], s[26:27], -v[90:91]
	v_fma_f64 v[180:181], v[134:135], s[40:41], -v[172:173]
	v_fma_f64 v[172:173], v[134:135], s[40:41], v[172:173]
	v_fma_f64 v[80:81], v[148:149], s[52:53], v[52:53]
	;; [unrolled: 1-line block ×8, first 2 shown]
	v_fma_f64 v[88:89], v[140:141], s[38:39], -v[88:89]
	v_mul_f64 v[140:141], v[146:147], s[8:9]
	v_mul_f64 v[146:147], v[146:147], s[26:27]
	v_add_f64 v[24:25], v[40:41], v[24:25]
	v_add_f64 v[48:49], v[90:91], v[48:49]
	;; [unrolled: 1-line block ×3, first 2 shown]
	v_mul_f64 v[90:91], v[118:119], s[8:9]
	v_add_f64 v[26:27], v[78:79], v[26:27]
	v_add_f64 v[30:31], v[80:81], v[30:31]
	;; [unrolled: 1-line block ×9, first 2 shown]
	v_fma_f64 v[160:161], v[142:143], s[46:47], v[140:141]
	v_fma_f64 v[140:141], v[142:143], s[0:1], v[140:141]
	;; [unrolled: 1-line block ×4, first 2 shown]
	v_mul_f64 v[146:147], v[136:137], s[0:1]
	v_mul_f64 v[136:137], v[136:137], s[20:21]
	v_add_f64 v[46:47], v[152:153], v[50:51]
	v_mul_f64 v[50:51], v[122:123], s[58:59]
	v_mul_f64 v[52:53], v[122:123], s[36:37]
	;; [unrolled: 1-line block ×6, first 2 shown]
	v_fma_f64 v[122:123], v[116:117], s[0:1], v[90:91]
	v_fma_f64 v[90:91], v[116:117], s[46:47], v[90:91]
	v_add_f64 v[62:63], v[174:175], v[62:63]
	v_add_f64 v[24:25], v[164:165], v[24:25]
	;; [unrolled: 1-line block ×12, first 2 shown]
	v_mul_f64 v[68:69], v[118:119], s[18:19]
	v_fma_f64 v[176:177], v[134:135], s[8:9], v[146:147]
	v_fma_f64 v[146:147], v[134:135], s[8:9], -v[146:147]
	v_fma_f64 v[184:185], v[134:135], s[26:27], -v[136:137]
	v_fma_f64 v[134:135], v[134:135], s[26:27], v[136:137]
	v_mul_f64 v[136:137], v[138:139], s[22:23]
	v_mul_f64 v[138:139], v[138:139], s[38:39]
	v_fma_f64 v[76:77], v[120:121], s[34:35], v[50:51]
	v_fma_f64 v[50:51], v[120:121], s[34:35], -v[50:51]
	v_fma_f64 v[78:79], v[120:121], s[38:39], v[52:53]
	v_fma_f64 v[52:53], v[120:121], s[38:39], -v[52:53]
	v_fma_f64 v[80:81], v[120:121], s[28:29], -v[70:71]
	v_fma_f64 v[70:71], v[120:121], s[28:29], v[70:71]
	v_fma_f64 v[82:83], v[120:121], s[18:19], -v[72:73]
	v_fma_f64 v[72:73], v[120:121], s[18:19], v[72:73]
	;; [unrolled: 2-line block ×3, first 2 shown]
	v_fma_f64 v[118:119], v[116:117], s[30:31], v[86:87]
	v_fma_f64 v[86:87], v[116:117], s[58:59], v[86:87]
	;; [unrolled: 1-line block ×4, first 2 shown]
	v_add_f64 v[32:33], v[168:169], v[32:33]
	v_add_f64 v[34:35], v[142:143], v[34:35]
	;; [unrolled: 1-line block ×12, first 2 shown]
	v_fma_f64 v[94:95], v[116:117], s[50:51], v[68:69]
	v_add_f64 v[56:57], v[176:177], v[56:57]
	v_add_f64 v[42:43], v[146:147], v[42:43]
	;; [unrolled: 1-line block ×3, first 2 shown]
	v_fma_f64 v[68:69], v[116:117], s[14:15], v[68:69]
	v_fma_f64 v[192:193], v[132:133], s[44:45], v[136:137]
	;; [unrolled: 1-line block ×5, first 2 shown]
	v_mul_f64 v[138:139], v[128:129], s[16:17]
	v_mul_f64 v[128:129], v[128:129], s[36:37]
	v_add_f64 v[54:55], v[134:135], v[54:55]
	v_mul_f64 v[134:135], v[114:115], s[58:59]
	v_add_f64 v[44:45], v[52:53], v[44:45]
	v_add_f64 v[58:59], v[78:79], v[58:59]
	v_mul_f64 v[78:79], v[110:111], s[28:29]
	v_add_f64 v[62:63], v[72:73], v[62:63]
	v_add_f64 v[24:25], v[220:221], v[24:25]
	;; [unrolled: 1-line block ×8, first 2 shown]
	v_mul_f64 v[60:61], v[110:111], s[38:39]
	v_add_f64 v[40:41], v[80:81], v[40:41]
	v_mul_f64 v[70:71], v[110:111], s[26:27]
	v_add_f64 v[64:65], v[192:193], v[64:65]
	v_add_f64 v[36:37], v[136:137], v[36:37]
	v_mul_f64 v[136:137], v[114:115], s[16:17]
	v_add_f64 v[32:33], v[200:201], v[32:33]
	v_fma_f64 v[208:209], v[126:127], s[22:23], v[138:139]
	v_fma_f64 v[138:139], v[126:127], s[22:23], -v[138:139]
	v_fma_f64 v[216:217], v[126:127], s[38:39], -v[128:129]
	v_fma_f64 v[126:127], v[126:127], s[38:39], v[128:129]
	v_mul_f64 v[128:129], v[130:131], s[34:35]
	v_mul_f64 v[130:131], v[130:131], s[22:23]
	v_fma_f64 v[142:143], v[112:113], s[34:35], v[134:135]
	v_fma_f64 v[134:135], v[112:113], s[34:35], -v[134:135]
	v_add_f64 v[34:35], v[132:133], v[34:35]
	v_add_f64 v[24:25], v[88:89], v[24:25]
	;; [unrolled: 1-line block ×6, first 2 shown]
	v_mul_f64 v[86:87], v[106:107], s[48:49]
	v_fma_f64 v[80:81], v[108:109], s[54:55], v[60:61]
	v_fma_f64 v[60:61], v[108:109], s[36:37], v[60:61]
	v_fma_f64 v[144:145], v[112:113], s[22:23], -v[136:137]
	v_fma_f64 v[136:137], v[112:113], s[22:23], v[136:137]
	v_add_f64 v[56:57], v[208:209], v[56:57]
	v_add_f64 v[42:43], v[138:139], v[42:43]
	;; [unrolled: 1-line block ×3, first 2 shown]
	v_mul_f64 v[138:139], v[114:115], s[0:1]
	v_fma_f64 v[224:225], v[124:125], s[30:31], v[128:129]
	v_fma_f64 v[128:129], v[124:125], s[58:59], v[128:129]
	;; [unrolled: 1-line block ×6, first 2 shown]
	v_mul_f64 v[116:117], v[114:115], s[14:15]
	v_mul_f64 v[114:115], v[114:115], s[56:57]
	v_add_f64 v[54:55], v[126:127], v[54:55]
	v_add_f64 v[58:59], v[142:143], v[58:59]
	;; [unrolled: 1-line block ×3, first 2 shown]
	v_fma_f64 v[90:91], v[102:103], s[28:29], -v[86:87]
	v_fma_f64 v[86:87], v[102:103], s[28:29], v[86:87]
	v_add_f64 v[40:41], v[144:145], v[40:41]
	v_add_f64 v[52:53], v[136:137], v[52:53]
	;; [unrolled: 1-line block ×8, first 2 shown]
	v_mul_f64 v[66:67], v[110:111], s[8:9]
	v_fma_f64 v[146:147], v[112:113], s[8:9], -v[138:139]
	v_fma_f64 v[138:139], v[112:113], s[8:9], v[138:139]
	v_add_f64 v[32:33], v[232:233], v[32:33]
	v_fma_f64 v[140:141], v[112:113], s[18:19], v[116:117]
	v_fma_f64 v[116:117], v[112:113], s[18:19], -v[116:117]
	v_fma_f64 v[148:149], v[112:113], s[40:41], -v[114:115]
	v_add_f64 v[54:55], v[74:75], v[54:55]
	v_mul_f64 v[74:75], v[106:107], s[0:1]
	v_add_f64 v[34:35], v[124:125], v[34:35]
	v_mul_f64 v[76:77], v[110:111], s[34:35]
	v_fma_f64 v[84:85], v[108:109], s[20:21], v[70:71]
	v_fma_f64 v[70:71], v[108:109], s[52:53], v[70:71]
	v_fma_f64 v[112:113], v[112:113], s[40:41], v[114:115]
	v_fma_f64 v[114:115], v[108:109], s[48:49], v[78:79]
	v_fma_f64 v[78:79], v[108:109], s[24:25], v[78:79]
	v_add_f64 v[50:51], v[118:119], v[50:51]
	v_add_f64 v[64:65], v[94:95], v[64:65]
	;; [unrolled: 1-line block ×3, first 2 shown]
	v_mul_f64 v[68:69], v[106:107], s[36:37]
	v_fma_f64 v[82:83], v[108:109], s[46:47], v[66:67]
	v_fma_f64 v[66:67], v[108:109], s[0:1], v[66:67]
	v_add_f64 v[32:33], v[130:131], v[32:33]
	v_add_f64 v[56:57], v[140:141], v[56:57]
	;; [unrolled: 1-line block ×7, first 2 shown]
	v_mul_f64 v[92:93], v[104:105], s[8:9]
	v_mul_f64 v[94:95], v[100:101], s[20:21]
	v_fma_f64 v[110:111], v[108:109], s[30:31], v[76:77]
	v_add_f64 v[24:25], v[70:71], v[24:25]
	v_mul_f64 v[70:71], v[104:105], s[22:23]
	v_fma_f64 v[76:77], v[108:109], s[58:59], v[76:77]
	v_add_f64 v[54:55], v[112:113], v[54:55]
	v_add_f64 v[64:65], v[80:81], v[64:65]
	v_mul_f64 v[80:81], v[106:107], s[52:53]
	v_fma_f64 v[72:73], v[102:103], s[38:39], v[68:69]
	v_fma_f64 v[68:69], v[102:103], s[38:39], -v[68:69]
	v_add_f64 v[36:37], v[60:61], v[36:37]
	v_fma_f64 v[60:61], v[102:103], s[8:9], v[74:75]
	v_fma_f64 v[74:75], v[102:103], s[8:9], -v[74:75]
	v_add_f64 v[50:51], v[82:83], v[50:51]
	v_mul_f64 v[82:83], v[104:105], s[28:29]
	v_add_f64 v[38:39], v[66:67], v[38:39]
	v_mul_f64 v[66:67], v[104:105], s[26:27]
	;; [unrolled: 2-line block ×3, first 2 shown]
	v_add_f64 v[32:33], v[114:115], v[32:33]
	v_add_f64 v[28:29], v[110:111], v[28:29]
	v_add_f64 v[78:79], v[78:79], v[34:35]
	v_add_f64 v[76:77], v[76:77], v[30:31]
	v_add_f64 v[86:87], v[86:87], v[54:55]
	v_add_f64 v[56:57], v[72:73], v[56:57]
	v_mul_f64 v[72:73], v[106:107], s[30:31]
	v_add_f64 v[68:69], v[68:69], v[42:43]
	v_fma_f64 v[42:43], v[102:103], s[26:27], -v[80:81]
	v_fma_f64 v[80:81], v[102:103], s[26:27], v[80:81]
	v_add_f64 v[58:59], v[60:61], v[58:59]
	v_mul_f64 v[60:61], v[100:101], s[48:49]
	v_add_f64 v[74:75], v[74:75], v[44:45]
	v_mul_f64 v[44:45], v[104:105], s[18:19]
	v_fma_f64 v[110:111], v[96:97], s[22:23], -v[46:47]
	v_fma_f64 v[112:113], v[96:97], s[22:23], v[46:47]
	v_fma_f64 v[88:89], v[102:103], s[34:35], -v[72:73]
	v_fma_f64 v[72:73], v[102:103], s[34:35], v[72:73]
	v_mul_f64 v[102:103], v[100:101], s[50:51]
	v_mul_f64 v[100:101], v[100:101], s[46:47]
	v_add_f64 v[104:105], v[42:43], v[40:41]
	v_fma_f64 v[40:41], v[98:99], s[48:49], v[82:83]
	v_fma_f64 v[42:43], v[98:99], s[20:21], v[66:67]
	v_add_f64 v[52:53], v[80:81], v[52:53]
	v_fma_f64 v[80:81], v[98:99], s[16:17], v[70:71]
	v_fma_f64 v[70:71], v[98:99], s[44:45], v[70:71]
	;; [unrolled: 1-line block ×3, first 2 shown]
	v_fma_f64 v[60:61], v[96:97], s[28:29], -v[60:61]
	v_add_f64 v[48:49], v[88:89], v[48:49]
	v_fma_f64 v[88:89], v[98:99], s[24:25], v[82:83]
	v_add_f64 v[82:83], v[84:85], v[26:27]
	v_fma_f64 v[84:85], v[98:99], s[52:53], v[66:67]
	v_fma_f64 v[66:67], v[98:99], s[14:15], v[44:45]
	;; [unrolled: 1-line block ×3, first 2 shown]
	v_add_f64 v[62:63], v[72:73], v[62:63]
	v_fma_f64 v[72:73], v[98:99], s[46:47], v[92:93]
	v_fma_f64 v[114:115], v[96:97], s[8:9], -v[100:101]
	v_fma_f64 v[108:109], v[96:97], s[18:19], -v[102:103]
	v_fma_f64 v[92:93], v[98:99], s[0:1], v[92:93]
	v_fma_f64 v[98:99], v[96:97], s[26:27], v[94:95]
	v_fma_f64 v[94:95], v[96:97], s[26:27], -v[94:95]
	v_fma_f64 v[102:103], v[96:97], s[18:19], v[102:103]
	v_fma_f64 v[96:97], v[96:97], s[8:9], v[100:101]
	v_add_f64 v[34:35], v[42:43], v[38:39]
	v_add_f64 v[30:31], v[40:41], v[36:37]
	;; [unrolled: 1-line block ×6, first 2 shown]
	v_mul_u32_u24_e32 v64, 17, v234
	v_add_f64 v[50:51], v[84:85], v[50:51]
	v_add_f64 v[54:55], v[66:67], v[82:83]
	;; [unrolled: 1-line block ×14, first 2 shown]
	v_lshlrev_b32_e32 v64, 4, v64
	ds_store_b128 v64, v[4:7]
	ds_store_b128 v64, v[20:23] offset:16
	ds_store_b128 v64, v[44:47] offset:32
	;; [unrolled: 1-line block ×15, first 2 shown]
	scratch_load_b128 v[0:3], off, off offset:4 ; 16-byte Folded Reload
	s_waitcnt vmcnt(0)
	ds_store_b128 v64, v[0:3] offset:256
.LBB0_7:
	s_or_b32 exec_lo, exec_lo, s33
	scratch_load_b32 v244, off, off         ; 4-byte Folded Reload
	v_and_b32_e32 v0, 0xff, v234
	s_waitcnt vmcnt(0) lgkmcnt(0)
	s_barrier
	buffer_gl0_inv
	s_mov_b32 s8, 0xe8584caa
	v_mul_lo_u16 v0, 0xf1, v0
	s_mov_b32 s9, 0x3febb67a
	s_mov_b32 s15, 0xbfebb67a
	;; [unrolled: 1-line block ×4, first 2 shown]
	v_lshrrev_b16 v84, 12, v0
	s_mov_b32 s34, 0x8eee2c13
	s_mov_b32 s22, 0x43842ef
	;; [unrolled: 1-line block ×4, first 2 shown]
	v_mul_lo_u16 v0, v84, 17
	s_mov_b32 s27, 0xbfe14ced
	s_mov_b32 s35, 0xbfed1bb4
	;; [unrolled: 1-line block ×4, first 2 shown]
	v_sub_nc_u16 v0, v234, v0
	s_mov_b32 s31, 0xbfd207e7
	s_mov_b32 s24, 0x9bcd5057
	s_mov_b32 s25, 0xbfeeb42a
	s_mov_b32 s0, 0x8764f0ba
	v_and_b32_e32 v85, 0xff, v0
	s_mov_b32 s16, 0xd9c712b6
	s_mov_b32 s18, 0x640f44db
	;; [unrolled: 1-line block ×4, first 2 shown]
	v_lshlrev_b32_e32 v0, 5, v85
	s_mov_b32 s17, 0x3fda9628
	s_mov_b32 s19, 0xbfc2375f
	;; [unrolled: 1-line block ×4, first 2 shown]
	s_clause 0x1
	global_load_b128 v[49:52], v0, s[2:3]
	global_load_b128 v[45:48], v0, s[2:3] offset:16
	s_mov_b32 s42, s30
	s_mov_b32 s41, 0x3fefac9e
	;; [unrolled: 1-line block ×7, first 2 shown]
	v_dual_mov_b32 v232, v234 :: v_dual_and_b32 v1, 0xff, v244
	v_add_co_u32 v241, null, 0x66, v244
	v_add_co_u32 v2, null, 0x99, v244
	s_delay_alu instid0(VALU_DEP_3) | instskip(NEXT) | instid1(VALU_DEP_3)
	v_mul_lo_u16 v1, 0xf1, v1
	v_and_b32_e32 v92, 0xff, v241
	v_add_co_u32 v248, null, 0x132, v244
	scratch_store_b32 off, v2, off offset:1160 ; 4-byte Folded Spill
	v_lshrrev_b16 v93, 12, v1
	v_add_co_u32 v247, null, 0x165, v244
	v_add_co_u32 v240, null, 0x198, v244
	s_delay_alu instid0(VALU_DEP_3) | instskip(SKIP_2) | instid1(VALU_DEP_3)
	v_mul_lo_u16 v1, v93, 17
	v_add_co_u32 v233, null, 0x1cb, v244
	v_add_co_u32 v249, null, 0x1fe, v244
	v_sub_nc_u16 v94, v244, v1
	v_mul_lo_u16 v1, 0xf1, v92
	s_delay_alu instid0(VALU_DEP_2) | instskip(NEXT) | instid1(VALU_DEP_2)
	v_lshlrev_b16 v0, 1, v94
	v_lshrrev_b16 v86, 12, v1
	s_delay_alu instid0(VALU_DEP_2) | instskip(NEXT) | instid1(VALU_DEP_2)
	v_and_b32_e32 v0, 0xfe, v0
	v_mul_lo_u16 v1, v86, 17
	s_delay_alu instid0(VALU_DEP_2)
	v_lshlrev_b32_e32 v0, 4, v0
	s_clause 0x1
	global_load_b128 v[57:60], v0, s[2:3]
	global_load_b128 v[53:56], v0, s[2:3] offset:16
	v_sub_nc_u16 v0, v241, v1
	v_and_b32_e32 v1, 0xff, v2
	s_delay_alu instid0(VALU_DEP_2) | instskip(NEXT) | instid1(VALU_DEP_2)
	v_and_b32_e32 v88, 0xff, v0
	v_mul_lo_u16 v0, 0xf1, v1
	s_delay_alu instid0(VALU_DEP_2) | instskip(NEXT) | instid1(VALU_DEP_2)
	v_lshlrev_b32_e32 v1, 5, v88
	v_lshrrev_b16 v87, 12, v0
	s_clause 0x1
	global_load_b128 v[64:67], v1, s[2:3]
	global_load_b128 v[97:100], v1, s[2:3] offset:16
	v_mul_lo_u16 v0, v87, 17
	s_delay_alu instid0(VALU_DEP_1) | instskip(SKIP_1) | instid1(VALU_DEP_2)
	v_sub_nc_u16 v0, v2, v0
	v_add_co_u32 v2, null, 0xcc, v244
	v_and_b32_e32 v89, 0xff, v0
	s_delay_alu instid0(VALU_DEP_2)
	v_and_b32_e32 v1, 0xff, v2
	scratch_store_b32 off, v2, off offset:1196 ; 4-byte Folded Spill
	v_lshlrev_b32_e32 v0, 5, v89
	v_mul_lo_u16 v1, 0xf1, v1
	s_clause 0x1
	global_load_b128 v[115:118], v0, s[2:3]
	global_load_b128 v[101:104], v0, s[2:3] offset:16
	v_lshrrev_b16 v90, 12, v1
	s_delay_alu instid0(VALU_DEP_1) | instskip(NEXT) | instid1(VALU_DEP_1)
	v_mul_lo_u16 v1, v90, 17
	v_sub_nc_u16 v0, v2, v1
	v_add_co_u32 v1, null, 0xff, v244
	s_delay_alu instid0(VALU_DEP_2) | instskip(NEXT) | instid1(VALU_DEP_1)
	v_and_b32_e32 v91, 0xff, v0
	v_lshlrev_b32_e32 v0, 5, v91
	s_clause 0x1
	global_load_b128 v[123:126], v0, s[2:3]
	global_load_b128 v[119:122], v0, s[2:3] offset:16
	v_and_b32_e32 v0, 0xffff, v1
	scratch_store_b32 off, v1, off offset:1216 ; 4-byte Folded Spill
	v_mul_u32_u24_e32 v0, 0xf0f1, v0
	s_delay_alu instid0(VALU_DEP_1) | instskip(NEXT) | instid1(VALU_DEP_1)
	v_lshrrev_b32_e32 v95, 20, v0
	v_mul_lo_u16 v0, v95, 17
	s_delay_alu instid0(VALU_DEP_1) | instskip(NEXT) | instid1(VALU_DEP_1)
	v_sub_nc_u16 v96, v1, v0
	v_lshlrev_b16 v0, 1, v96
	s_delay_alu instid0(VALU_DEP_1) | instskip(NEXT) | instid1(VALU_DEP_1)
	v_and_b32_e32 v0, 0xffff, v0
	v_lshlrev_b32_e32 v12, 4, v0
	global_load_b128 v[127:130], v12, s[2:3]
	ds_load_b128 v[8:11], v252 offset:9792
	ds_load_b128 v[4:7], v252 offset:18768
	ds_load_b128 v[0:3], v252 offset:8976
	ds_load_b128 v[13:16], v252 offset:17952
	ds_load_b128 v[17:20], v252 offset:10608
	ds_load_b128 v[135:138], v252 offset:3264
	ds_load_b128 v[25:28], v252 offset:11424
	s_waitcnt vmcnt(10)
	scratch_store_b128 off, v[49:52], off offset:36 ; 16-byte Folded Spill
	s_waitcnt vmcnt(9)
	scratch_store_b128 off, v[45:48], off offset:20 ; 16-byte Folded Spill
	ds_load_b128 v[21:24], v252 offset:19584
	ds_load_b128 v[131:134], v252 offset:2448
	s_waitcnt lgkmcnt(8)
	v_mul_f64 v[29:30], v[10:11], v[51:52]
	v_mul_f64 v[31:32], v[8:9], v[51:52]
	s_waitcnt lgkmcnt(7)
	v_mul_f64 v[33:34], v[6:7], v[47:48]
	v_mul_f64 v[35:36], v[4:5], v[47:48]
	s_delay_alu instid0(VALU_DEP_4) | instskip(NEXT) | instid1(VALU_DEP_4)
	v_fma_f64 v[107:108], v[8:9], v[49:50], -v[29:30]
	v_fma_f64 v[109:110], v[10:11], v[49:50], v[31:32]
	s_delay_alu instid0(VALU_DEP_4) | instskip(NEXT) | instid1(VALU_DEP_4)
	v_fma_f64 v[111:112], v[4:5], v[45:46], -v[33:34]
	v_fma_f64 v[113:114], v[6:7], v[45:46], v[35:36]
	ds_load_b128 v[4:7], v252 offset:12240
	s_waitcnt vmcnt(8) lgkmcnt(7)
	v_mul_f64 v[37:38], v[2:3], v[59:60]
	v_mul_f64 v[39:40], v[0:1], v[59:60]
	scratch_store_b128 off, v[57:60], off offset:68 ; 16-byte Folded Spill
	s_waitcnt vmcnt(7)
	scratch_store_b128 off, v[53:56], off offset:52 ; 16-byte Folded Spill
	s_waitcnt vmcnt(6) lgkmcnt(5)
	v_mul_f64 v[8:9], v[19:20], v[66:67]
	v_mul_f64 v[10:11], v[17:18], v[66:67]
	scratch_store_b128 off, v[64:67], off offset:100 ; 16-byte Folded Spill
	s_waitcnt vmcnt(5)
	scratch_store_b128 off, v[97:100], off offset:84 ; 16-byte Folded Spill
	v_fma_f64 v[62:63], v[0:1], v[57:58], -v[37:38]
	v_fma_f64 v[72:73], v[2:3], v[57:58], v[39:40]
	ds_load_b128 v[0:3], v252 offset:20400
	v_mul_f64 v[41:42], v[15:16], v[55:56]
	v_mul_f64 v[43:44], v[13:14], v[55:56]
	s_waitcnt vmcnt(4)
	scratch_store_b128 off, v[115:118], off offset:468 ; 16-byte Folded Spill
	s_waitcnt vmcnt(3)
	scratch_store_b128 off, v[101:104], off offset:452 ; 16-byte Folded Spill
	;; [unrolled: 2-line block ×4, first 2 shown]
	v_fma_f64 v[76:77], v[13:14], v[53:54], -v[41:42]
	s_waitcnt lgkmcnt(4)
	v_mul_f64 v[13:14], v[27:28], v[117:118]
	v_fma_f64 v[80:81], v[15:16], v[53:54], v[43:44]
	v_fma_f64 v[52:53], v[17:18], v[64:65], -v[8:9]
	v_fma_f64 v[64:65], v[19:20], v[64:65], v[10:11]
	s_waitcnt lgkmcnt(0)
	v_mul_f64 v[10:11], v[0:1], v[103:104]
	v_mul_f64 v[15:16], v[25:26], v[117:118]
	;; [unrolled: 1-line block ×3, first 2 shown]
	v_fma_f64 v[42:43], v[25:26], v[115:116], -v[13:14]
	v_mul_f64 v[13:14], v[6:7], v[125:126]
	v_fma_f64 v[70:71], v[2:3], v[101:102], v[10:11]
	v_fma_f64 v[54:55], v[27:28], v[115:116], v[15:16]
	v_mul_f64 v[15:16], v[4:5], v[125:126]
	v_fma_f64 v[60:61], v[0:1], v[101:102], -v[8:9]
	ds_load_b128 v[0:3], v252 offset:21216
	v_fma_f64 v[36:37], v[4:5], v[123:124], -v[13:14]
	global_load_b128 v[10:13], v12, s[2:3] offset:16
	s_waitcnt lgkmcnt(0)
	v_mul_f64 v[4:5], v[2:3], v[121:122]
	s_waitcnt vmcnt(1)
	scratch_store_b128 off, v[127:130], off offset:516 ; 16-byte Folded Spill
	v_fma_f64 v[44:45], v[6:7], v[123:124], v[15:16]
	v_mul_f64 v[6:7], v[0:1], v[121:122]
	v_fma_f64 v[48:49], v[0:1], v[119:120], -v[4:5]
	s_delay_alu instid0(VALU_DEP_2)
	v_fma_f64 v[58:59], v[2:3], v[119:120], v[6:7]
	ds_load_b128 v[0:3], v252 offset:13056
	v_mul_f64 v[29:30], v[23:24], v[99:100]
	v_mul_f64 v[31:32], v[21:22], v[99:100]
	v_add_f64 v[119:120], v[62:63], v[76:77]
	s_waitcnt lgkmcnt(0)
	v_mul_f64 v[4:5], v[2:3], v[129:130]
	s_delay_alu instid0(VALU_DEP_4) | instskip(NEXT) | instid1(VALU_DEP_4)
	v_fma_f64 v[68:69], v[21:22], v[97:98], -v[29:30]
	v_fma_f64 v[74:75], v[23:24], v[97:98], v[31:32]
	s_delay_alu instid0(VALU_DEP_3) | instskip(SKIP_1) | instid1(VALU_DEP_1)
	v_fma_f64 v[4:5], v[0:1], v[127:128], -v[4:5]
	v_mul_f64 v[0:1], v[0:1], v[129:130]
	v_fma_f64 v[6:7], v[2:3], v[127:128], v[0:1]
	ds_load_b128 v[0:3], v252 offset:22032
	ds_load_b128 v[127:130], v252 offset:1632
	s_waitcnt vmcnt(0)
	scratch_store_b128 off, v[10:13], off offset:692 ; 16-byte Folded Spill
	s_waitcnt lgkmcnt(1)
	v_mul_f64 v[8:9], v[2:3], v[12:13]
	s_delay_alu instid0(VALU_DEP_1) | instskip(SKIP_1) | instid1(VALU_DEP_1)
	v_fma_f64 v[8:9], v[0:1], v[10:11], -v[8:9]
	v_mul_f64 v[0:1], v[0:1], v[12:13]
	v_fma_f64 v[12:13], v[2:3], v[10:11], v[0:1]
	v_and_b32_e32 v0, 0xffff, v248
	s_delay_alu instid0(VALU_DEP_1) | instskip(NEXT) | instid1(VALU_DEP_1)
	v_mul_u32_u24_e32 v0, 0xf0f1, v0
	v_lshrrev_b32_e32 v97, 20, v0
	s_delay_alu instid0(VALU_DEP_1) | instskip(NEXT) | instid1(VALU_DEP_1)
	v_mul_lo_u16 v0, v97, 17
	v_sub_nc_u16 v98, v248, v0
	s_delay_alu instid0(VALU_DEP_1) | instskip(NEXT) | instid1(VALU_DEP_1)
	v_lshlrev_b16 v0, 1, v98
	v_and_b32_e32 v0, 0xffff, v0
	s_delay_alu instid0(VALU_DEP_1)
	v_lshlrev_b32_e32 v16, 4, v0
	ds_load_b128 v[0:3], v252 offset:13872
	global_load_b128 v[17:20], v16, s[2:3]
	s_waitcnt vmcnt(0) lgkmcnt(0)
	v_mul_f64 v[10:11], v[2:3], v[19:20]
	scratch_store_b128 off, v[17:20], off offset:708 ; 16-byte Folded Spill
	v_fma_f64 v[10:11], v[0:1], v[17:18], -v[10:11]
	v_mul_f64 v[0:1], v[0:1], v[19:20]
	s_delay_alu instid0(VALU_DEP_1)
	v_fma_f64 v[14:15], v[2:3], v[17:18], v[0:1]
	global_load_b128 v[18:21], v16, s[2:3] offset:16
	ds_load_b128 v[0:3], v252 offset:22848
	s_waitcnt vmcnt(0) lgkmcnt(0)
	v_mul_f64 v[16:17], v[2:3], v[20:21]
	scratch_store_b128 off, v[18:21], off offset:724 ; 16-byte Folded Spill
	v_fma_f64 v[16:17], v[0:1], v[18:19], -v[16:17]
	v_mul_f64 v[0:1], v[0:1], v[20:21]
	s_delay_alu instid0(VALU_DEP_1) | instskip(SKIP_1) | instid1(VALU_DEP_1)
	v_fma_f64 v[20:21], v[2:3], v[18:19], v[0:1]
	v_and_b32_e32 v0, 0xffff, v247
	v_mul_u32_u24_e32 v0, 0xf0f1, v0
	s_delay_alu instid0(VALU_DEP_1) | instskip(NEXT) | instid1(VALU_DEP_1)
	v_lshrrev_b32_e32 v99, 20, v0
	v_mul_lo_u16 v0, v99, 17
	s_delay_alu instid0(VALU_DEP_1) | instskip(NEXT) | instid1(VALU_DEP_1)
	v_sub_nc_u16 v100, v247, v0
	v_lshlrev_b16 v0, 1, v100
	s_delay_alu instid0(VALU_DEP_1) | instskip(NEXT) | instid1(VALU_DEP_1)
	v_and_b32_e32 v0, 0xffff, v0
	v_lshlrev_b32_e32 v24, 4, v0
	ds_load_b128 v[0:3], v252 offset:14688
	global_load_b128 v[25:28], v24, s[2:3]
	s_waitcnt vmcnt(0) lgkmcnt(0)
	v_mul_f64 v[18:19], v[2:3], v[27:28]
	scratch_store_b128 off, v[25:28], off offset:756 ; 16-byte Folded Spill
	v_fma_f64 v[18:19], v[0:1], v[25:26], -v[18:19]
	v_mul_f64 v[0:1], v[0:1], v[27:28]
	s_delay_alu instid0(VALU_DEP_1)
	v_fma_f64 v[22:23], v[2:3], v[25:26], v[0:1]
	global_load_b128 v[26:29], v24, s[2:3] offset:16
	ds_load_b128 v[0:3], v252 offset:23664
	s_waitcnt vmcnt(0) lgkmcnt(0)
	v_mul_f64 v[24:25], v[2:3], v[28:29]
	scratch_store_b128 off, v[26:29], off offset:772 ; 16-byte Folded Spill
	v_fma_f64 v[24:25], v[0:1], v[26:27], -v[24:25]
	v_mul_f64 v[0:1], v[0:1], v[28:29]
	s_delay_alu instid0(VALU_DEP_1) | instskip(SKIP_1) | instid1(VALU_DEP_1)
	v_fma_f64 v[28:29], v[2:3], v[26:27], v[0:1]
	v_and_b32_e32 v0, 0xffff, v240
	v_mul_u32_u24_e32 v0, 0xf0f1, v0
	s_delay_alu instid0(VALU_DEP_1) | instskip(NEXT) | instid1(VALU_DEP_1)
	v_lshrrev_b32_e32 v101, 20, v0
	v_mul_lo_u16 v0, v101, 17
	s_delay_alu instid0(VALU_DEP_1) | instskip(NEXT) | instid1(VALU_DEP_1)
	v_sub_nc_u16 v102, v240, v0
	v_lshlrev_b16 v0, 1, v102
	s_delay_alu instid0(VALU_DEP_1) | instskip(NEXT) | instid1(VALU_DEP_1)
	v_and_b32_e32 v0, 0xffff, v0
	;; [unrolled: 29-line block ×4, first 2 shown]
	v_lshlrev_b32_e32 v78, 4, v0
	ds_load_b128 v[0:3], v252 offset:17136
	global_load_b128 v[115:118], v78, s[2:3]
	s_waitcnt vmcnt(0) lgkmcnt(0)
	v_mul_f64 v[50:51], v[2:3], v[117:118]
	scratch_store_b128 off, v[115:118], off offset:916 ; 16-byte Folded Spill
	v_fma_f64 v[50:51], v[0:1], v[115:116], -v[50:51]
	v_mul_f64 v[0:1], v[0:1], v[117:118]
	s_delay_alu instid0(VALU_DEP_1)
	v_fma_f64 v[66:67], v[2:3], v[115:116], v[0:1]
	global_load_b128 v[115:118], v78, s[2:3] offset:16
	ds_load_b128 v[0:3], v252 offset:26112
	s_waitcnt vmcnt(0) lgkmcnt(0)
	v_mul_f64 v[78:79], v[2:3], v[117:118]
	scratch_store_b128 off, v[115:118], off offset:932 ; 16-byte Folded Spill
	v_fma_f64 v[78:79], v[0:1], v[115:116], -v[78:79]
	v_mul_f64 v[0:1], v[0:1], v[117:118]
	v_add_f64 v[117:118], v[109:110], v[113:114]
	s_delay_alu instid0(VALU_DEP_2)
	v_fma_f64 v[82:83], v[2:3], v[115:116], v[0:1]
	ds_load_b128 v[0:3], v252 offset:816
	v_add_f64 v[115:116], v[107:108], v[111:112]
	s_waitcnt lgkmcnt(0)
	v_fma_f64 v[117:118], v[117:118], -0.5, v[2:3]
	v_add_f64 v[2:3], v[2:3], v[109:110]
	v_add_f64 v[109:110], v[109:110], -v[113:114]
	s_delay_alu instid0(VALU_DEP_4) | instskip(SKIP_1) | instid1(VALU_DEP_4)
	v_fma_f64 v[115:116], v[115:116], -0.5, v[0:1]
	v_add_f64 v[0:1], v[0:1], v[107:108]
	v_add_f64 v[2:3], v[2:3], v[113:114]
	v_add_f64 v[113:114], v[107:108], -v[111:112]
	s_delay_alu instid0(VALU_DEP_4) | instskip(NEXT) | instid1(VALU_DEP_4)
	v_fma_f64 v[107:108], v[109:110], s[8:9], v[115:116]
	v_add_f64 v[0:1], v[0:1], v[111:112]
	v_fma_f64 v[111:112], v[109:110], s[14:15], v[115:116]
	s_delay_alu instid0(VALU_DEP_4)
	v_fma_f64 v[109:110], v[113:114], s[14:15], v[117:118]
	v_fma_f64 v[113:114], v[113:114], s[8:9], v[117:118]
	ds_load_b128 v[115:118], v252
	ds_load_b128 v[139:142], v252 offset:8160
	ds_load_b128 v[143:146], v252 offset:4080
	;; [unrolled: 1-line block ×6, first 2 shown]
	s_waitcnt lgkmcnt(0)
	s_waitcnt_vscnt null, 0x0
	s_barrier
	buffer_gl0_inv
	v_fma_f64 v[121:122], v[119:120], -0.5, v[115:116]
	v_add_f64 v[119:120], v[72:73], v[80:81]
	v_add_f64 v[115:116], v[115:116], v[62:63]
	v_add_f64 v[62:63], v[62:63], -v[76:77]
	s_delay_alu instid0(VALU_DEP_3) | instskip(SKIP_3) | instid1(VALU_DEP_3)
	v_fma_f64 v[125:126], v[119:120], -0.5, v[117:118]
	v_add_f64 v[117:118], v[117:118], v[72:73]
	v_add_f64 v[72:73], v[72:73], -v[80:81]
	v_add_f64 v[115:116], v[115:116], v[76:77]
	v_add_f64 v[117:118], v[117:118], v[80:81]
	s_delay_alu instid0(VALU_DEP_3)
	v_fma_f64 v[119:120], v[72:73], s[8:9], v[121:122]
	v_fma_f64 v[123:124], v[72:73], s[14:15], v[121:122]
	;; [unrolled: 1-line block ×4, first 2 shown]
	v_add_f64 v[62:63], v[52:53], v[68:69]
	v_add_f64 v[72:73], v[127:128], v[52:53]
	v_add_f64 v[52:53], v[52:53], -v[68:69]
	s_delay_alu instid0(VALU_DEP_3) | instskip(SKIP_2) | instid1(VALU_DEP_2)
	v_fma_f64 v[76:77], v[62:63], -0.5, v[127:128]
	v_add_f64 v[62:63], v[64:65], v[74:75]
	v_add_f64 v[127:128], v[64:65], -v[74:75]
	v_fma_f64 v[80:81], v[62:63], -0.5, v[129:130]
	v_add_f64 v[62:63], v[129:130], v[64:65]
	s_delay_alu instid0(VALU_DEP_2) | instskip(NEXT) | instid1(VALU_DEP_2)
	v_fma_f64 v[129:130], v[52:53], s[8:9], v[80:81]
	v_add_f64 v[64:65], v[62:63], v[74:75]
	v_fma_f64 v[74:75], v[52:53], s[14:15], v[80:81]
	v_add_f64 v[52:53], v[42:43], v[60:61]
	v_add_f64 v[62:63], v[72:73], v[68:69]
	v_fma_f64 v[72:73], v[127:128], s[8:9], v[76:77]
	v_fma_f64 v[127:128], v[127:128], s[14:15], v[76:77]
	v_add_f64 v[68:69], v[131:132], v[42:43]
	v_add_f64 v[42:43], v[42:43], -v[60:61]
	v_fma_f64 v[76:77], v[52:53], -0.5, v[131:132]
	v_add_f64 v[52:53], v[54:55], v[70:71]
	v_add_f64 v[131:132], v[54:55], -v[70:71]
	s_delay_alu instid0(VALU_DEP_2) | instskip(SKIP_1) | instid1(VALU_DEP_2)
	v_fma_f64 v[80:81], v[52:53], -0.5, v[133:134]
	v_add_f64 v[52:53], v[133:134], v[54:55]
	v_fma_f64 v[133:134], v[42:43], s[8:9], v[80:81]
	s_delay_alu instid0(VALU_DEP_2)
	v_add_f64 v[54:55], v[52:53], v[70:71]
	v_fma_f64 v[70:71], v[42:43], s[14:15], v[80:81]
	v_add_f64 v[42:43], v[36:37], v[48:49]
	v_add_f64 v[52:53], v[68:69], v[60:61]
	v_fma_f64 v[68:69], v[131:132], s[8:9], v[76:77]
	v_fma_f64 v[131:132], v[131:132], s[14:15], v[76:77]
	v_add_f64 v[80:81], v[135:136], v[36:37]
	v_add_f64 v[36:37], v[36:37], -v[48:49]
	v_fma_f64 v[60:61], v[42:43], -0.5, v[135:136]
	v_add_f64 v[42:43], v[44:45], v[58:59]
	v_add_f64 v[135:136], v[44:45], -v[58:59]
	s_delay_alu instid0(VALU_DEP_2) | instskip(SKIP_1) | instid1(VALU_DEP_2)
	v_fma_f64 v[76:77], v[42:43], -0.5, v[137:138]
	v_add_f64 v[42:43], v[137:138], v[44:45]
	v_fma_f64 v[137:138], v[36:37], s[8:9], v[76:77]
	s_delay_alu instid0(VALU_DEP_2)
	v_add_f64 v[44:45], v[42:43], v[58:59]
	v_fma_f64 v[58:59], v[135:136], s[8:9], v[60:61]
	v_fma_f64 v[135:136], v[135:136], s[14:15], v[60:61]
	;; [unrolled: 1-line block ×3, first 2 shown]
	v_mad_u16 v36, v93, 51, v94
	v_add_f64 v[42:43], v[80:81], v[48:49]
	v_add_f64 v[48:49], v[6:7], v[12:13]
	;; [unrolled: 1-line block ×4, first 2 shown]
	v_and_b32_e32 v36, 0xff, v36
	v_add_f64 v[6:7], v[6:7], -v[12:13]
	s_delay_alu instid0(VALU_DEP_2)
	v_lshlrev_b32_e32 v93, 4, v36
	v_add_f64 v[36:37], v[4:5], v[8:9]
	ds_store_b128 v93, v[115:118]
	ds_store_b128 v93, v[119:122] offset:272
	scratch_store_b32 off, v93, off offset:1068 ; 4-byte Folded Spill
	ds_store_b128 v93, v[123:126] offset:544
	v_fma_f64 v[48:49], v[48:49], -0.5, v[145:146]
	v_add_f64 v[115:116], v[80:81], v[8:9]
	v_add_f64 v[8:9], v[4:5], -v[8:9]
	v_add_f64 v[117:118], v[76:77], v[12:13]
	v_add_f64 v[12:13], v[147:148], v[10:11]
	v_add_f64 v[76:77], v[14:15], -v[20:21]
	v_add_f64 v[80:81], v[159:160], v[34:35]
	v_fma_f64 v[36:37], v[36:37], -0.5, v[143:144]
	v_fma_f64 v[145:146], v[8:9], s[8:9], v[48:49]
	v_add_f64 v[12:13], v[12:13], v[16:17]
	s_delay_alu instid0(VALU_DEP_3) | instskip(SKIP_4) | instid1(VALU_DEP_2)
	v_fma_f64 v[4:5], v[6:7], s[8:9], v[36:37]
	v_fma_f64 v[143:144], v[6:7], s[14:15], v[36:37]
	;; [unrolled: 1-line block ×3, first 2 shown]
	v_add_f64 v[8:9], v[10:11], v[16:17]
	v_add_f64 v[16:17], v[10:11], -v[16:17]
	v_fma_f64 v[36:37], v[8:9], -0.5, v[147:148]
	v_add_f64 v[8:9], v[14:15], v[20:21]
	s_delay_alu instid0(VALU_DEP_2) | instskip(NEXT) | instid1(VALU_DEP_2)
	v_fma_f64 v[147:148], v[76:77], s[14:15], v[36:37]
	v_fma_f64 v[48:49], v[8:9], -0.5, v[149:150]
	v_add_f64 v[8:9], v[149:150], v[14:15]
	s_delay_alu instid0(VALU_DEP_2) | instskip(SKIP_2) | instid1(VALU_DEP_4)
	v_fma_f64 v[10:11], v[16:17], s[14:15], v[48:49]
	v_fma_f64 v[149:150], v[16:17], s[8:9], v[48:49]
	v_add_f64 v[16:17], v[18:19], v[24:25]
	v_add_f64 v[14:15], v[8:9], v[20:21]
	v_fma_f64 v[8:9], v[76:77], s[8:9], v[36:37]
	v_add_f64 v[20:21], v[151:152], v[18:19]
	v_add_f64 v[76:77], v[22:23], -v[28:29]
	v_fma_f64 v[36:37], v[16:17], -0.5, v[151:152]
	v_add_f64 v[16:17], v[22:23], v[28:29]
	s_delay_alu instid0(VALU_DEP_4) | instskip(SKIP_1) | instid1(VALU_DEP_4)
	v_add_f64 v[20:21], v[20:21], v[24:25]
	v_add_f64 v[24:25], v[18:19], -v[24:25]
	v_fma_f64 v[151:152], v[76:77], s[14:15], v[36:37]
	s_delay_alu instid0(VALU_DEP_4) | instskip(SKIP_1) | instid1(VALU_DEP_2)
	v_fma_f64 v[48:49], v[16:17], -0.5, v[153:154]
	v_add_f64 v[16:17], v[153:154], v[22:23]
	v_fma_f64 v[18:19], v[24:25], s[14:15], v[48:49]
	v_fma_f64 v[153:154], v[24:25], s[8:9], v[48:49]
	v_add_f64 v[24:25], v[26:27], v[32:33]
	s_delay_alu instid0(VALU_DEP_4)
	v_add_f64 v[22:23], v[16:17], v[28:29]
	v_fma_f64 v[16:17], v[76:77], s[8:9], v[36:37]
	v_add_f64 v[28:29], v[155:156], v[26:27]
	v_add_f64 v[76:77], v[30:31], -v[38:39]
	v_fma_f64 v[36:37], v[24:25], -0.5, v[155:156]
	v_add_f64 v[24:25], v[30:31], v[38:39]
	v_add_f64 v[155:156], v[80:81], v[46:47]
	;; [unrolled: 1-line block ×3, first 2 shown]
	v_add_f64 v[32:33], v[26:27], -v[32:33]
	v_add_f64 v[80:81], v[139:140], v[50:51]
	v_fma_f64 v[48:49], v[24:25], -0.5, v[157:158]
	v_add_f64 v[24:25], v[157:158], v[30:31]
	s_delay_alu instid0(VALU_DEP_3) | instskip(NEXT) | instid1(VALU_DEP_3)
	v_add_f64 v[80:81], v[80:81], v[78:79]
	v_fma_f64 v[26:27], v[32:33], s[14:15], v[48:49]
	s_delay_alu instid0(VALU_DEP_3) | instskip(SKIP_4) | instid1(VALU_DEP_3)
	v_add_f64 v[30:31], v[24:25], v[38:39]
	v_fma_f64 v[38:39], v[32:33], s[8:9], v[48:49]
	v_add_f64 v[32:33], v[34:35], v[46:47]
	v_fma_f64 v[24:25], v[76:77], s[8:9], v[36:37]
	v_fma_f64 v[36:37], v[76:77], s[14:15], v[36:37]
	v_fma_f64 v[48:49], v[32:33], -0.5, v[159:160]
	v_add_f64 v[32:33], v[40:41], v[56:57]
	s_delay_alu instid0(VALU_DEP_1) | instskip(SKIP_2) | instid1(VALU_DEP_2)
	v_fma_f64 v[76:77], v[32:33], -0.5, v[161:162]
	v_add_f64 v[32:33], v[161:162], v[40:41]
	v_add_f64 v[40:41], v[40:41], -v[56:57]
	v_add_f64 v[157:158], v[32:33], v[56:57]
	v_add_f64 v[56:57], v[34:35], -v[46:47]
	s_delay_alu instid0(VALU_DEP_3)
	v_fma_f64 v[32:33], v[40:41], s[8:9], v[48:49]
	v_fma_f64 v[46:47], v[40:41], s[14:15], v[48:49]
	v_add_f64 v[40:41], v[50:51], v[78:79]
	v_add_f64 v[50:51], v[50:51], -v[78:79]
	v_fma_f64 v[34:35], v[56:57], s[14:15], v[76:77]
	v_fma_f64 v[48:49], v[56:57], s[8:9], v[76:77]
	v_add_f64 v[56:57], v[66:67], v[82:83]
	v_fma_f64 v[40:41], v[40:41], -0.5, v[139:140]
	v_add_f64 v[76:77], v[141:142], v[66:67]
	v_add_f64 v[66:67], v[66:67], -v[82:83]
	s_delay_alu instid0(VALU_DEP_4) | instskip(NEXT) | instid1(VALU_DEP_3)
	v_fma_f64 v[56:57], v[56:57], -0.5, v[141:142]
	v_add_f64 v[82:83], v[76:77], v[82:83]
	s_delay_alu instid0(VALU_DEP_3) | instskip(SKIP_2) | instid1(VALU_DEP_1)
	v_fma_f64 v[76:77], v[66:67], s[8:9], v[40:41]
	v_fma_f64 v[139:140], v[66:67], s[14:15], v[40:41]
	v_and_b32_e32 v40, 0xffff, v84
	v_mul_u32_u24_e32 v40, 51, v40
	s_delay_alu instid0(VALU_DEP_1)
	v_add_lshl_u32 v40, v40, v85, 4
	ds_store_b128 v40, v[0:3]
	ds_store_b128 v40, v[107:110] offset:272
	v_and_b32_e32 v0, 0xffff, v86
	scratch_store_b32 off, v40, off offset:1360 ; 4-byte Folded Spill
	ds_store_b128 v40, v[111:114] offset:544
	v_mul_u32_u24_e32 v0, 51, v0
	s_delay_alu instid0(VALU_DEP_1)
	v_add_lshl_u32 v0, v0, v88, 4
	ds_store_b128 v0, v[62:65]
	ds_store_b128 v0, v[72:75] offset:272
	scratch_store_b32 off, v0, off offset:1212 ; 4-byte Folded Spill
	ds_store_b128 v0, v[127:130] offset:544
	v_and_b32_e32 v0, 0xffff, v87
	v_fma_f64 v[141:142], v[50:51], s[8:9], v[56:57]
	v_fma_f64 v[78:79], v[50:51], s[14:15], v[56:57]
	s_delay_alu instid0(VALU_DEP_3) | instskip(NEXT) | instid1(VALU_DEP_1)
	v_mul_u32_u24_e32 v0, 51, v0
	v_add_lshl_u32 v0, v0, v89, 4
	ds_store_b128 v0, v[52:55]
	ds_store_b128 v0, v[68:71] offset:272
	scratch_store_b32 off, v0, off offset:1176 ; 4-byte Folded Spill
	ds_store_b128 v0, v[131:134] offset:544
	v_and_b32_e32 v0, 0xffff, v90
	s_delay_alu instid0(VALU_DEP_1) | instskip(NEXT) | instid1(VALU_DEP_1)
	v_mul_u32_u24_e32 v0, 51, v0
	v_add_lshl_u32 v0, v0, v91, 4
	ds_store_b128 v0, v[42:45]
	ds_store_b128 v0, v[58:61] offset:272
	scratch_store_b32 off, v0, off offset:1108 ; 4-byte Folded Spill
	ds_store_b128 v0, v[135:138] offset:544
	v_mad_u16 v0, v95, 51, v96
	s_delay_alu instid0(VALU_DEP_1) | instskip(NEXT) | instid1(VALU_DEP_1)
	v_and_b32_e32 v0, 0xffff, v0
	v_lshlrev_b32_e32 v0, 4, v0
	ds_store_b128 v0, v[115:118]
	ds_store_b128 v0, v[4:7] offset:272
	scratch_store_b32 off, v0, off offset:1072 ; 4-byte Folded Spill
	ds_store_b128 v0, v[143:146] offset:544
	v_mad_u16 v0, v97, 51, v98
	v_mad_u64_u32 v[4:5], null, 0xa0, v244, s[2:3]
	s_delay_alu instid0(VALU_DEP_2) | instskip(NEXT) | instid1(VALU_DEP_1)
	v_and_b32_e32 v0, 0xffff, v0
	v_lshlrev_b32_e32 v0, 4, v0
	ds_store_b128 v0, v[12:15]
	ds_store_b128 v0, v[8:11] offset:272
	scratch_store_b32 off, v0, off offset:1064 ; 4-byte Folded Spill
	ds_store_b128 v0, v[147:150] offset:544
	v_mad_u16 v0, v99, 51, v100
	s_delay_alu instid0(VALU_DEP_1) | instskip(NEXT) | instid1(VALU_DEP_1)
	v_and_b32_e32 v0, 0xffff, v0
	v_lshlrev_b32_e32 v0, 4, v0
	ds_store_b128 v0, v[20:23]
	ds_store_b128 v0, v[16:19] offset:272
	scratch_store_b32 off, v0, off offset:1060 ; 4-byte Folded Spill
	ds_store_b128 v0, v[151:154] offset:544
	v_mad_u16 v0, v101, 51, v102
	s_delay_alu instid0(VALU_DEP_1) | instskip(NEXT) | instid1(VALU_DEP_1)
	;; [unrolled: 8-line block ×4, first 2 shown]
	v_and_b32_e32 v0, 0xffff, v0
	v_lshlrev_b32_e32 v0, 4, v0
	ds_store_b128 v0, v[80:83]
	ds_store_b128 v0, v[76:79] offset:272
	scratch_store_b32 off, v0, off offset:1032 ; 4-byte Folded Spill
	ds_store_b128 v0, v[139:142] offset:544
	s_waitcnt lgkmcnt(0)
	s_waitcnt_vscnt null, 0x0
	s_barrier
	buffer_gl0_inv
	s_clause 0x3
	global_load_b128 v[12:15], v[4:5], off offset:544
	global_load_b128 v[40:43], v[4:5], off offset:560
	;; [unrolled: 1-line block ×4, first 2 shown]
	ds_load_b128 v[0:3], v252 offset:2448
	s_clause 0x5
	global_load_b128 v[44:47], v[4:5], off offset:608
	global_load_b128 v[36:39], v[4:5], off offset:624
	;; [unrolled: 1-line block ×6, first 2 shown]
	s_waitcnt vmcnt(9) lgkmcnt(0)
	v_mul_f64 v[6:7], v[2:3], v[14:15]
	scratch_store_b128 off, v[12:15], off offset:532 ; 16-byte Folded Spill
	s_waitcnt vmcnt(8)
	scratch_store_b128 off, v[40:43], off offset:644 ; 16-byte Folded Spill
	s_waitcnt vmcnt(7)
	;; [unrolled: 2-line block ×9, first 2 shown]
	scratch_store_b128 off, v[16:19], off offset:548 ; 16-byte Folded Spill
	v_fma_f64 v[8:9], v[0:1], v[12:13], -v[6:7]
	v_mul_f64 v[0:1], v[0:1], v[14:15]
	s_delay_alu instid0(VALU_DEP_1) | instskip(SKIP_3) | instid1(VALU_DEP_1)
	v_fma_f64 v[10:11], v[2:3], v[12:13], v[0:1]
	ds_load_b128 v[0:3], v252 offset:4896
	s_waitcnt lgkmcnt(0)
	v_mul_f64 v[6:7], v[2:3], v[42:43]
	v_fma_f64 v[84:85], v[0:1], v[40:41], -v[6:7]
	v_mul_f64 v[0:1], v[0:1], v[42:43]
	s_delay_alu instid0(VALU_DEP_1) | instskip(SKIP_3) | instid1(VALU_DEP_1)
	v_fma_f64 v[86:87], v[2:3], v[40:41], v[0:1]
	ds_load_b128 v[0:3], v252 offset:7344
	s_waitcnt lgkmcnt(0)
	v_mul_f64 v[6:7], v[2:3], v[34:35]
	;; [unrolled: 7-line block ×5, first 2 shown]
	v_fma_f64 v[164:165], v[0:1], v[36:37], -v[6:7]
	v_mul_f64 v[0:1], v[0:1], v[38:39]
	s_delay_alu instid0(VALU_DEP_2) | instskip(NEXT) | instid1(VALU_DEP_2)
	v_add_f64 v[152:153], v[158:159], v[164:165]
	v_fma_f64 v[166:167], v[2:3], v[36:37], v[0:1]
	ds_load_b128 v[0:3], v252 offset:17136
	s_waitcnt lgkmcnt(0)
	v_mul_f64 v[6:7], v[2:3], v[30:31]
	v_add_f64 v[150:151], v[160:161], -v[166:167]
	s_delay_alu instid0(VALU_DEP_2) | instskip(SKIP_1) | instid1(VALU_DEP_3)
	v_fma_f64 v[168:169], v[0:1], v[28:29], -v[6:7]
	v_mul_f64 v[0:1], v[0:1], v[30:31]
	v_mul_f64 v[154:155], v[150:151], s[30:31]
	s_delay_alu instid0(VALU_DEP_3) | instskip(NEXT) | instid1(VALU_DEP_3)
	v_add_f64 v[142:143], v[96:97], v[168:169]
	v_fma_f64 v[170:171], v[2:3], v[28:29], v[0:1]
	ds_load_b128 v[0:3], v252 offset:19584
	v_add_f64 v[144:145], v[96:97], -v[168:169]
	s_waitcnt lgkmcnt(0)
	v_mul_f64 v[6:7], v[2:3], v[26:27]
	v_add_f64 v[140:141], v[98:99], -v[170:171]
	v_add_f64 v[146:147], v[98:99], v[170:171]
	s_delay_alu instid0(VALU_DEP_4) | instskip(NEXT) | instid1(VALU_DEP_4)
	v_mul_f64 v[148:149], v[144:145], s[28:29]
	v_fma_f64 v[80:81], v[0:1], v[24:25], -v[6:7]
	v_mul_f64 v[0:1], v[0:1], v[26:27]
	s_delay_alu instid0(VALU_DEP_2) | instskip(NEXT) | instid1(VALU_DEP_2)
	v_add_f64 v[136:137], v[88:89], -v[80:81]
	v_fma_f64 v[82:83], v[2:3], v[24:25], v[0:1]
	ds_load_b128 v[0:3], v252 offset:22032
	s_waitcnt lgkmcnt(0)
	v_mul_f64 v[6:7], v[2:3], v[22:23]
	v_add_f64 v[138:139], v[90:91], v[82:83]
	s_delay_alu instid0(VALU_DEP_2) | instskip(SKIP_1) | instid1(VALU_DEP_1)
	v_fma_f64 v[176:177], v[0:1], v[20:21], -v[6:7]
	v_mul_f64 v[0:1], v[0:1], v[22:23]
	v_fma_f64 v[178:179], v[2:3], v[20:21], v[0:1]
	ds_load_b128 v[0:3], v252 offset:24480
	s_waitcnt lgkmcnt(0)
	v_mul_f64 v[4:5], v[2:3], v[18:19]
	s_delay_alu instid0(VALU_DEP_1) | instskip(SKIP_1) | instid1(VALU_DEP_1)
	v_fma_f64 v[180:181], v[0:1], v[16:17], -v[4:5]
	v_mul_f64 v[0:1], v[0:1], v[18:19]
	v_fma_f64 v[182:183], v[2:3], v[16:17], v[0:1]
	ds_load_b128 v[2:5], v252 offset:3264
	s_waitcnt lgkmcnt(0)
	v_mul_f64 v[0:1], v[4:5], v[14:15]
	s_delay_alu instid0(VALU_DEP_1) | instskip(SKIP_1) | instid1(VALU_DEP_1)
	;; [unrolled: 7-line block ×6, first 2 shown]
	v_fma_f64 v[196:197], v[4:5], v[44:45], -v[12:13]
	v_mul_f64 v[4:5], v[4:5], v[46:47]
	v_fma_f64 v[198:199], v[6:7], v[44:45], v[4:5]
	ds_load_b128 v[4:7], v252 offset:15504
	s_waitcnt lgkmcnt(0)
	v_mul_f64 v[12:13], v[6:7], v[38:39]
	s_delay_alu instid0(VALU_DEP_1) | instskip(SKIP_2) | instid1(VALU_DEP_2)
	v_fma_f64 v[200:201], v[4:5], v[36:37], -v[12:13]
	v_mul_f64 v[4:5], v[4:5], v[38:39]
	v_add_f64 v[38:39], v[10:11], v[182:183]
	v_fma_f64 v[202:203], v[6:7], v[36:37], v[4:5]
	ds_load_b128 v[4:7], v252 offset:17952
	s_waitcnt lgkmcnt(0)
	v_mul_f64 v[12:13], v[6:7], v[30:31]
	s_delay_alu instid0(VALU_DEP_1) | instskip(SKIP_1) | instid1(VALU_DEP_1)
	v_fma_f64 v[204:205], v[4:5], v[28:29], -v[12:13]
	v_mul_f64 v[4:5], v[4:5], v[30:31]
	v_fma_f64 v[206:207], v[6:7], v[28:29], v[4:5]
	ds_load_b128 v[4:7], v252 offset:20400
	s_waitcnt lgkmcnt(0)
	v_mul_f64 v[12:13], v[6:7], v[26:27]
	s_delay_alu instid0(VALU_DEP_1) | instskip(SKIP_1) | instid1(VALU_DEP_1)
	v_fma_f64 v[208:209], v[4:5], v[24:25], -v[12:13]
	v_mul_f64 v[4:5], v[4:5], v[26:27]
	;; [unrolled: 7-line block ×4, first 2 shown]
	v_fma_f64 v[218:219], v[6:7], v[16:17], v[4:5]
	v_mul_lo_u16 v4, 0xa1, v92
	s_delay_alu instid0(VALU_DEP_1) | instskip(NEXT) | instid1(VALU_DEP_1)
	v_lshrrev_b16 v4, 13, v4
	v_mul_lo_u16 v4, v4, 51
	s_delay_alu instid0(VALU_DEP_1) | instskip(NEXT) | instid1(VALU_DEP_1)
	v_sub_nc_u16 v4, v241, v4
	v_and_b32_e32 v4, 0xff, v4
	s_delay_alu instid0(VALU_DEP_1)
	v_mad_u64_u32 v[12:13], null, 0xa0, v4, s[2:3]
	global_load_b128 v[16:19], v[12:13], off offset:544
	scratch_store_b32 off, v4, off offset:1028 ; 4-byte Folded Spill
	ds_load_b128 v[4:7], v252 offset:4080
	v_add_f64 v[74:75], v[2:3], v[218:219]
	s_waitcnt vmcnt(0)
	scratch_store_b128 off, v[16:19], off offset:740 ; 16-byte Folded Spill
	s_waitcnt lgkmcnt(0)
	v_mul_f64 v[14:15], v[6:7], v[18:19]
	s_delay_alu instid0(VALU_DEP_1) | instskip(SKIP_1) | instid1(VALU_DEP_1)
	v_fma_f64 v[220:221], v[4:5], v[16:17], -v[14:15]
	v_mul_f64 v[4:5], v[4:5], v[18:19]
	v_fma_f64 v[224:225], v[6:7], v[16:17], v[4:5]
	global_load_b128 v[16:19], v[12:13], off offset:560
	ds_load_b128 v[4:7], v252 offset:6528
	s_waitcnt vmcnt(0) lgkmcnt(0)
	v_mul_f64 v[14:15], v[6:7], v[18:19]
	scratch_store_b128 off, v[16:19], off offset:788 ; 16-byte Folded Spill
	v_fma_f64 v[112:113], v[4:5], v[16:17], -v[14:15]
	v_mul_f64 v[4:5], v[4:5], v[18:19]
	s_delay_alu instid0(VALU_DEP_1)
	v_fma_f64 v[114:115], v[6:7], v[16:17], v[4:5]
	global_load_b128 v[16:19], v[12:13], off offset:576
	ds_load_b128 v[4:7], v252 offset:8976
	s_waitcnt vmcnt(0) lgkmcnt(0)
	v_mul_f64 v[14:15], v[6:7], v[18:19]
	scratch_store_b128 off, v[16:19], off offset:804 ; 16-byte Folded Spill
	v_fma_f64 v[104:105], v[4:5], v[16:17], -v[14:15]
	v_mul_f64 v[4:5], v[4:5], v[18:19]
	s_delay_alu instid0(VALU_DEP_1)
	;; [unrolled: 9-line block ×7, first 2 shown]
	v_fma_f64 v[162:163], v[6:7], v[16:17], v[4:5]
	global_load_b128 v[16:19], v[12:13], off offset:672
	ds_load_b128 v[4:7], v252 offset:23664
	s_waitcnt vmcnt(0) lgkmcnt(0)
	v_mul_f64 v[14:15], v[6:7], v[18:19]
	scratch_store_b128 off, v[16:19], off offset:996 ; 16-byte Folded Spill
	v_fma_f64 v[222:223], v[4:5], v[16:17], -v[14:15]
	v_mul_f64 v[4:5], v[4:5], v[18:19]
	v_add_f64 v[18:19], v[8:9], v[180:181]
	s_delay_alu instid0(VALU_DEP_2)
	v_fma_f64 v[226:227], v[6:7], v[16:17], v[4:5]
	global_load_b128 v[14:17], v[12:13], off offset:688
	ds_load_b128 v[4:7], v252 offset:26112
	s_waitcnt vmcnt(0) lgkmcnt(0)
	v_mul_f64 v[12:13], v[6:7], v[16:17]
	scratch_store_b128 off, v[14:17], off offset:1012 ; 16-byte Folded Spill
	v_fma_f64 v[228:229], v[4:5], v[14:15], -v[12:13]
	v_mul_f64 v[4:5], v[4:5], v[16:17]
	s_delay_alu instid0(VALU_DEP_1) | instskip(SKIP_1) | instid1(VALU_DEP_1)
	v_fma_f64 v[230:231], v[6:7], v[14:15], v[4:5]
	v_add_f64 v[4:5], v[10:11], -v[182:183]
	v_mul_f64 v[6:7], v[4:5], s[26:27]
	v_mul_f64 v[12:13], v[4:5], s[34:35]
	;; [unrolled: 1-line block ×5, first 2 shown]
	v_fma_f64 v[20:21], v[18:19], s[0:1], -v[6:7]
	v_fma_f64 v[22:23], v[18:19], s[0:1], v[6:7]
	v_fma_f64 v[24:25], v[18:19], s[16:17], -v[12:13]
	v_fma_f64 v[12:13], v[18:19], s[16:17], v[12:13]
	;; [unrolled: 2-line block ×3, first 2 shown]
	v_add_f64 v[4:5], v[8:9], -v[180:181]
	v_fma_f64 v[26:27], v[18:19], s[18:19], -v[14:15]
	v_fma_f64 v[14:15], v[18:19], s[18:19], v[14:15]
	v_fma_f64 v[28:29], v[18:19], s[20:21], -v[16:17]
	v_fma_f64 v[30:31], v[18:19], s[20:21], v[16:17]
	v_mul_f64 v[6:7], v[4:5], s[26:27]
	v_mul_f64 v[16:17], v[4:5], s[34:35]
	;; [unrolled: 1-line block ×5, first 2 shown]
	v_fma_f64 v[40:41], v[38:39], s[0:1], v[6:7]
	v_fma_f64 v[42:43], v[38:39], s[0:1], -v[6:7]
	v_fma_f64 v[44:45], v[38:39], s[16:17], v[16:17]
	v_fma_f64 v[16:17], v[38:39], s[16:17], -v[16:17]
	v_fma_f64 v[46:47], v[38:39], s[18:19], v[18:19]
	v_fma_f64 v[48:49], v[38:39], s[18:19], -v[18:19]
	v_fma_f64 v[50:51], v[38:39], s[20:21], v[34:35]
	v_fma_f64 v[34:35], v[38:39], s[20:21], -v[34:35]
	v_fma_f64 v[52:53], v[38:39], s[24:25], v[4:5]
	v_fma_f64 v[38:39], v[38:39], s[24:25], -v[4:5]
	ds_load_b128 v[4:7], v252
	s_waitcnt lgkmcnt(0)
	v_add_f64 v[8:9], v[4:5], v[8:9]
	v_add_f64 v[22:23], v[4:5], v[22:23]
	;; [unrolled: 1-line block ×19, first 2 shown]
	scratch_store_b64 off, v[8:9], off offset:1040 ; 8-byte Folded Spill
	v_add_f64 v[8:9], v[6:7], v[10:11]
	v_add_f64 v[10:11], v[6:7], v[40:41]
	;; [unrolled: 1-line block ×3, first 2 shown]
	scratch_store_b64 off, v[8:9], off offset:1076 ; 8-byte Folded Spill
	v_add_f64 v[8:9], v[4:5], v[20:21]
	v_add_f64 v[4:5], v[2:3], -v[218:219]
	v_add_f64 v[20:21], v[6:7], v[46:47]
	s_delay_alu instid0(VALU_DEP_2)
	v_mul_f64 v[6:7], v[4:5], s[26:27]
	v_mul_f64 v[12:13], v[4:5], s[34:35]
	v_mul_f64 v[14:15], v[4:5], s[22:23]
	v_mul_f64 v[46:47], v[4:5], s[28:29]
	v_mul_f64 v[4:5], v[4:5], s[30:31]
	v_fma_f64 v[50:51], v[48:49], s[0:1], -v[6:7]
	v_fma_f64 v[52:53], v[48:49], s[0:1], v[6:7]
	v_fma_f64 v[56:57], v[48:49], s[16:17], -v[12:13]
	v_fma_f64 v[12:13], v[48:49], s[16:17], v[12:13]
	v_fma_f64 v[58:59], v[48:49], s[18:19], -v[14:15]
	v_fma_f64 v[14:15], v[48:49], s[18:19], v[14:15]
	v_fma_f64 v[64:65], v[48:49], s[20:21], -v[46:47]
	v_fma_f64 v[46:47], v[48:49], s[20:21], v[46:47]
	v_fma_f64 v[72:73], v[48:49], s[24:25], -v[4:5]
	v_fma_f64 v[48:49], v[48:49], s[24:25], v[4:5]
	v_add_f64 v[4:5], v[0:1], -v[216:217]
	s_delay_alu instid0(VALU_DEP_1)
	v_mul_f64 v[66:67], v[4:5], s[34:35]
	v_mul_f64 v[6:7], v[4:5], s[26:27]
	;; [unrolled: 1-line block ×5, first 2 shown]
	v_fma_f64 v[250:251], v[74:75], s[16:17], v[66:67]
	v_fma_f64 v[66:67], v[74:75], s[16:17], -v[66:67]
	v_fma_f64 v[76:77], v[74:75], s[0:1], v[6:7]
	v_fma_f64 v[78:79], v[74:75], s[0:1], -v[6:7]
	;; [unrolled: 2-line block ×3, first 2 shown]
	ds_load_b128 v[4:7], v252 offset:816
	v_fma_f64 v[254:255], v[74:75], s[18:19], v[68:69]
	v_fma_f64 v[68:69], v[74:75], s[18:19], -v[68:69]
	v_fma_f64 v[116:117], v[74:75], s[20:21], v[70:71]
	v_fma_f64 v[118:119], v[74:75], s[20:21], -v[70:71]
	s_waitcnt lgkmcnt(0)
	v_add_f64 v[236:237], v[4:5], v[0:1]
	v_add_f64 v[238:239], v[6:7], v[2:3]
	v_add_f64 v[128:129], v[4:5], v[56:57]
	v_add_f64 v[70:71], v[4:5], v[64:65]
	v_add_f64 v[50:51], v[4:5], v[50:51]
	v_add_f64 v[52:53], v[4:5], v[52:53]
	v_add_f64 v[134:135], v[4:5], v[58:59]
	v_add_f64 v[58:59], v[4:5], v[14:15]
	v_add_f64 v[74:75], v[4:5], v[72:73]
	v_mul_f64 v[14:15], v[140:141], s[28:29]
	v_add_f64 v[130:131], v[6:7], v[250:251]
	v_add_f64 v[132:133], v[6:7], v[66:67]
	;; [unrolled: 1-line block ×3, first 2 shown]
	v_add_f64 v[46:47], v[86:87], -v[178:179]
	v_add_f64 v[124:125], v[6:7], v[76:77]
	v_add_f64 v[76:77], v[4:5], v[48:49]
	;; [unrolled: 1-line block ×6, first 2 shown]
	v_add_f64 v[116:117], v[84:85], -v[176:177]
	v_add_f64 v[64:65], v[6:7], v[118:119]
	v_add_f64 v[118:119], v[86:87], v[178:179]
	v_add_f64 v[72:73], v[6:7], v[120:121]
	v_add_f64 v[120:121], v[90:91], -v[82:83]
	v_add_f64 v[126:127], v[6:7], v[78:79]
	v_add_f64 v[78:79], v[6:7], v[122:123]
	v_add_f64 v[122:123], v[88:89], v[80:81]
	v_add_f64 v[254:255], v[6:7], v[254:255]
	v_mul_f64 v[12:13], v[136:137], s[22:23]
	v_mul_f64 v[0:1], v[46:47], s[34:35]
	s_delay_alu instid0(VALU_DEP_1) | instskip(SKIP_1) | instid1(VALU_DEP_2)
	v_fma_f64 v[2:3], v[48:49], s[16:17], -v[0:1]
	v_fma_f64 v[0:1], v[48:49], s[16:17], v[0:1]
	v_add_f64 v[2:3], v[2:3], v[8:9]
	v_mul_f64 v[8:9], v[116:117], s[34:35]
	s_delay_alu instid0(VALU_DEP_3) | instskip(SKIP_1) | instid1(VALU_DEP_3)
	v_add_f64 v[0:1], v[0:1], v[22:23]
	v_mul_f64 v[22:23], v[120:121], s[42:43]
	v_fma_f64 v[4:5], v[118:119], s[16:17], v[8:9]
	v_fma_f64 v[8:9], v[118:119], s[16:17], -v[8:9]
	s_delay_alu instid0(VALU_DEP_2) | instskip(SKIP_1) | instid1(VALU_DEP_3)
	v_add_f64 v[4:5], v[4:5], v[10:11]
	v_mul_f64 v[10:11], v[120:121], s[22:23]
	v_add_f64 v[8:9], v[8:9], v[172:173]
	s_delay_alu instid0(VALU_DEP_2) | instskip(SKIP_1) | instid1(VALU_DEP_2)
	v_fma_f64 v[6:7], v[122:123], s[18:19], -v[10:11]
	v_fma_f64 v[10:11], v[122:123], s[18:19], v[10:11]
	v_add_f64 v[2:3], v[6:7], v[2:3]
	v_fma_f64 v[6:7], v[138:139], s[18:19], v[12:13]
	s_delay_alu instid0(VALU_DEP_3) | instskip(SKIP_1) | instid1(VALU_DEP_3)
	v_add_f64 v[0:1], v[10:11], v[0:1]
	v_fma_f64 v[10:11], v[138:139], s[18:19], -v[12:13]
	v_add_f64 v[4:5], v[6:7], v[4:5]
	v_fma_f64 v[6:7], v[142:143], s[20:21], -v[14:15]
	s_delay_alu instid0(VALU_DEP_3)
	v_add_f64 v[8:9], v[10:11], v[8:9]
	v_fma_f64 v[10:11], v[142:143], s[20:21], v[14:15]
	v_fma_f64 v[14:15], v[122:123], s[24:25], -v[22:23]
	v_fma_f64 v[22:23], v[122:123], s[24:25], v[22:23]
	v_add_f64 v[2:3], v[6:7], v[2:3]
	v_fma_f64 v[6:7], v[146:147], s[20:21], v[148:149]
	v_add_f64 v[0:1], v[10:11], v[0:1]
	v_fma_f64 v[10:11], v[146:147], s[20:21], -v[148:149]
	v_mul_f64 v[148:149], v[144:145], s[40:41]
	s_delay_alu instid0(VALU_DEP_4) | instskip(SKIP_1) | instid1(VALU_DEP_4)
	v_add_f64 v[6:7], v[6:7], v[4:5]
	v_fma_f64 v[4:5], v[152:153], s[24:25], -v[154:155]
	v_add_f64 v[8:9], v[10:11], v[8:9]
	v_fma_f64 v[10:11], v[152:153], s[24:25], v[154:155]
	v_mul_f64 v[154:155], v[150:151], s[36:37]
	s_delay_alu instid0(VALU_DEP_4) | instskip(SKIP_1) | instid1(VALU_DEP_4)
	v_add_f64 v[4:5], v[4:5], v[2:3]
	v_add_f64 v[2:3], v[158:159], -v[164:165]
	v_add_f64 v[172:173], v[10:11], v[0:1]
	v_mul_f64 v[0:1], v[46:47], s[28:29]
	v_mul_f64 v[10:11], v[116:117], s[28:29]
	s_delay_alu instid0(VALU_DEP_4) | instskip(NEXT) | instid1(VALU_DEP_1)
	v_mul_f64 v[174:175], v[2:3], s[30:31]
	v_fma_f64 v[12:13], v[40:41], s[24:25], -v[174:175]
	v_fma_f64 v[242:243], v[40:41], s[24:25], v[174:175]
	s_delay_alu instid0(VALU_DEP_2)
	v_add_f64 v[174:175], v[12:13], v[8:9]
	v_fma_f64 v[8:9], v[48:49], s[20:21], -v[0:1]
	v_fma_f64 v[12:13], v[118:119], s[20:21], v[10:11]
	v_fma_f64 v[0:1], v[48:49], s[20:21], v[0:1]
	v_fma_f64 v[10:11], v[118:119], s[20:21], -v[10:11]
	v_add_f64 v[6:7], v[242:243], v[6:7]
	v_add_f64 v[8:9], v[8:9], v[42:43]
	v_mul_f64 v[42:43], v[136:137], s[42:43]
	v_add_f64 v[12:13], v[12:13], v[44:45]
	v_mul_f64 v[44:45], v[140:141], s[40:41]
	v_add_f64 v[0:1], v[0:1], v[54:55]
	v_add_f64 v[10:11], v[10:11], v[60:61]
	;; [unrolled: 1-line block ×3, first 2 shown]
	v_fma_f64 v[14:15], v[138:139], s[24:25], v[42:43]
	s_delay_alu instid0(VALU_DEP_4) | instskip(SKIP_1) | instid1(VALU_DEP_3)
	v_add_f64 v[0:1], v[22:23], v[0:1]
	v_fma_f64 v[22:23], v[138:139], s[24:25], -v[42:43]
	v_add_f64 v[12:13], v[14:15], v[12:13]
	v_fma_f64 v[14:15], v[142:143], s[18:19], -v[44:45]
	s_delay_alu instid0(VALU_DEP_3) | instskip(SKIP_1) | instid1(VALU_DEP_3)
	v_add_f64 v[10:11], v[22:23], v[10:11]
	v_fma_f64 v[22:23], v[142:143], s[18:19], v[44:45]
	v_add_f64 v[8:9], v[14:15], v[8:9]
	v_fma_f64 v[14:15], v[146:147], s[18:19], v[148:149]
	s_delay_alu instid0(VALU_DEP_3) | instskip(SKIP_1) | instid1(VALU_DEP_3)
	v_add_f64 v[0:1], v[22:23], v[0:1]
	v_fma_f64 v[22:23], v[146:147], s[18:19], -v[148:149]
	v_add_f64 v[14:15], v[14:15], v[12:13]
	v_fma_f64 v[12:13], v[152:153], s[0:1], -v[154:155]
	s_delay_alu instid0(VALU_DEP_3) | instskip(SKIP_2) | instid1(VALU_DEP_4)
	v_add_f64 v[10:11], v[22:23], v[10:11]
	v_fma_f64 v[22:23], v[152:153], s[0:1], v[154:155]
	v_mul_f64 v[154:155], v[150:151], s[28:29]
	v_add_f64 v[12:13], v[12:13], v[8:9]
	v_mul_f64 v[8:9], v[2:3], s[36:37]
	s_delay_alu instid0(VALU_DEP_1) | instskip(SKIP_3) | instid1(VALU_DEP_4)
	v_fma_f64 v[42:43], v[40:41], s[0:1], -v[8:9]
	v_fma_f64 v[242:243], v[40:41], s[0:1], v[8:9]
	v_add_f64 v[8:9], v[22:23], v[0:1]
	v_mul_f64 v[0:1], v[46:47], s[42:43]
	v_add_f64 v[10:11], v[42:43], v[10:11]
	v_mul_f64 v[42:43], v[116:117], s[42:43]
	v_add_f64 v[14:15], v[242:243], v[14:15]
	s_delay_alu instid0(VALU_DEP_4) | instskip(SKIP_3) | instid1(VALU_DEP_4)
	v_fma_f64 v[22:23], v[48:49], s[24:25], -v[0:1]
	v_fma_f64 v[0:1], v[48:49], s[24:25], v[0:1]
	v_mul_f64 v[242:243], v[2:3], s[28:29]
	v_fma_f64 v[44:45], v[118:119], s[24:25], v[42:43]
	v_add_f64 v[22:23], v[22:23], v[62:63]
	s_delay_alu instid0(VALU_DEP_4) | instskip(SKIP_4) | instid1(VALU_DEP_4)
	v_add_f64 v[0:1], v[0:1], v[18:19]
	v_fma_f64 v[18:19], v[118:119], s[24:25], -v[42:43]
	v_fma_f64 v[42:43], v[40:41], s[20:21], -v[242:243]
	v_add_f64 v[20:21], v[44:45], v[20:21]
	v_mul_f64 v[44:45], v[120:121], s[38:39]
	v_add_f64 v[16:17], v[18:19], v[16:17]
	s_delay_alu instid0(VALU_DEP_2) | instskip(SKIP_1) | instid1(VALU_DEP_2)
	v_fma_f64 v[54:55], v[122:123], s[16:17], -v[44:45]
	v_fma_f64 v[18:19], v[122:123], s[16:17], v[44:45]
	v_add_f64 v[22:23], v[54:55], v[22:23]
	v_mul_f64 v[54:55], v[136:137], s[38:39]
	s_delay_alu instid0(VALU_DEP_3) | instskip(NEXT) | instid1(VALU_DEP_2)
	v_add_f64 v[0:1], v[18:19], v[0:1]
	v_fma_f64 v[60:61], v[138:139], s[16:17], v[54:55]
	v_fma_f64 v[18:19], v[138:139], s[16:17], -v[54:55]
	s_delay_alu instid0(VALU_DEP_2) | instskip(SKIP_1) | instid1(VALU_DEP_3)
	v_add_f64 v[20:21], v[60:61], v[20:21]
	v_mul_f64 v[60:61], v[140:141], s[26:27]
	v_add_f64 v[16:17], v[18:19], v[16:17]
	s_delay_alu instid0(VALU_DEP_2) | instskip(SKIP_1) | instid1(VALU_DEP_2)
	v_fma_f64 v[62:63], v[142:143], s[0:1], -v[60:61]
	v_fma_f64 v[18:19], v[142:143], s[0:1], v[60:61]
	v_add_f64 v[22:23], v[62:63], v[22:23]
	v_mul_f64 v[62:63], v[144:145], s[26:27]
	s_delay_alu instid0(VALU_DEP_3) | instskip(NEXT) | instid1(VALU_DEP_2)
	v_add_f64 v[0:1], v[18:19], v[0:1]
	v_fma_f64 v[18:19], v[146:147], s[0:1], -v[62:63]
	v_fma_f64 v[148:149], v[146:147], s[0:1], v[62:63]
	s_delay_alu instid0(VALU_DEP_2) | instskip(SKIP_1) | instid1(VALU_DEP_3)
	v_add_f64 v[18:19], v[18:19], v[16:17]
	v_fma_f64 v[16:17], v[152:153], s[20:21], v[154:155]
	v_add_f64 v[148:149], v[148:149], v[20:21]
	v_fma_f64 v[20:21], v[152:153], s[20:21], -v[154:155]
	v_mul_f64 v[154:155], v[150:151], s[38:39]
	v_add_f64 v[18:19], v[42:43], v[18:19]
	v_add_f64 v[16:17], v[16:17], v[0:1]
	v_mul_f64 v[0:1], v[46:47], s[40:41]
	v_add_f64 v[20:21], v[20:21], v[22:23]
	v_fma_f64 v[22:23], v[40:41], s[20:21], v[242:243]
	v_mul_f64 v[242:243], v[2:3], s[38:39]
	v_mul_f64 v[2:3], v[2:3], s[22:23]
	v_fma_f64 v[42:43], v[48:49], s[18:19], -v[0:1]
	v_fma_f64 v[0:1], v[48:49], s[18:19], v[0:1]
	v_add_f64 v[22:23], v[22:23], v[148:149]
	s_delay_alu instid0(VALU_DEP_3) | instskip(SKIP_1) | instid1(VALU_DEP_4)
	v_add_f64 v[26:27], v[42:43], v[26:27]
	v_mul_f64 v[42:43], v[116:117], s[40:41]
	v_add_f64 v[0:1], v[0:1], v[30:31]
	s_delay_alu instid0(VALU_DEP_2) | instskip(SKIP_2) | instid1(VALU_DEP_3)
	v_fma_f64 v[44:45], v[118:119], s[18:19], v[42:43]
	v_fma_f64 v[30:31], v[118:119], s[18:19], -v[42:43]
	v_fma_f64 v[42:43], v[40:41], s[16:17], -v[242:243]
	v_add_f64 v[24:25], v[44:45], v[24:25]
	v_mul_f64 v[44:45], v[120:121], s[26:27]
	s_delay_alu instid0(VALU_DEP_4) | instskip(NEXT) | instid1(VALU_DEP_2)
	v_add_f64 v[28:29], v[30:31], v[28:29]
	v_fma_f64 v[54:55], v[122:123], s[0:1], -v[44:45]
	v_fma_f64 v[30:31], v[122:123], s[0:1], v[44:45]
	s_delay_alu instid0(VALU_DEP_2) | instskip(SKIP_1) | instid1(VALU_DEP_3)
	v_add_f64 v[26:27], v[54:55], v[26:27]
	v_mul_f64 v[54:55], v[136:137], s[26:27]
	v_add_f64 v[0:1], v[30:31], v[0:1]
	s_delay_alu instid0(VALU_DEP_2) | instskip(SKIP_1) | instid1(VALU_DEP_2)
	v_fma_f64 v[60:61], v[138:139], s[0:1], v[54:55]
	v_fma_f64 v[30:31], v[138:139], s[0:1], -v[54:55]
	v_add_f64 v[24:25], v[60:61], v[24:25]
	v_mul_f64 v[60:61], v[140:141], s[30:31]
	s_delay_alu instid0(VALU_DEP_3) | instskip(NEXT) | instid1(VALU_DEP_2)
	v_add_f64 v[28:29], v[30:31], v[28:29]
	v_fma_f64 v[62:63], v[142:143], s[24:25], -v[60:61]
	v_fma_f64 v[30:31], v[142:143], s[24:25], v[60:61]
	s_delay_alu instid0(VALU_DEP_2) | instskip(SKIP_1) | instid1(VALU_DEP_3)
	v_add_f64 v[26:27], v[62:63], v[26:27]
	v_mul_f64 v[62:63], v[144:145], s[30:31]
	v_add_f64 v[0:1], v[30:31], v[0:1]
	s_delay_alu instid0(VALU_DEP_2) | instskip(SKIP_1) | instid1(VALU_DEP_2)
	v_fma_f64 v[30:31], v[146:147], s[24:25], -v[62:63]
	v_fma_f64 v[148:149], v[146:147], s[24:25], v[62:63]
	v_add_f64 v[30:31], v[30:31], v[28:29]
	v_fma_f64 v[28:29], v[152:153], s[16:17], v[154:155]
	s_delay_alu instid0(VALU_DEP_3)
	v_add_f64 v[148:149], v[148:149], v[24:25]
	v_fma_f64 v[24:25], v[152:153], s[16:17], -v[154:155]
	v_add_f64 v[154:155], v[198:199], v[202:203]
	v_add_f64 v[30:31], v[42:43], v[30:31]
	;; [unrolled: 1-line block ×3, first 2 shown]
	v_mul_f64 v[0:1], v[46:47], s[36:37]
	v_add_f64 v[24:25], v[24:25], v[26:27]
	v_fma_f64 v[26:27], v[40:41], s[16:17], v[242:243]
	s_delay_alu instid0(VALU_DEP_3) | instskip(SKIP_1) | instid1(VALU_DEP_3)
	v_fma_f64 v[42:43], v[48:49], s[0:1], -v[0:1]
	v_fma_f64 v[0:1], v[48:49], s[0:1], v[0:1]
	v_add_f64 v[26:27], v[26:27], v[148:149]
	v_add_f64 v[148:149], v[196:197], v[200:201]
	s_delay_alu instid0(VALU_DEP_4) | instskip(SKIP_3) | instid1(VALU_DEP_3)
	v_add_f64 v[34:35], v[42:43], v[34:35]
	v_mul_f64 v[42:43], v[116:117], s[36:37]
	v_add_f64 v[0:1], v[0:1], v[36:37]
	v_mul_f64 v[116:117], v[150:151], s[22:23]
	v_fma_f64 v[44:45], v[118:119], s[0:1], v[42:43]
	v_fma_f64 v[42:43], v[118:119], s[0:1], -v[42:43]
	v_add_f64 v[118:119], v[186:187], v[214:215]
	s_delay_alu instid0(VALU_DEP_3) | instskip(SKIP_1) | instid1(VALU_DEP_4)
	v_add_f64 v[32:33], v[44:45], v[32:33]
	v_mul_f64 v[44:45], v[120:121], s[28:29]
	v_add_f64 v[36:37], v[42:43], v[38:39]
	v_add_f64 v[120:121], v[190:191], -v[210:211]
	s_delay_alu instid0(VALU_DEP_3) | instskip(SKIP_2) | instid1(VALU_DEP_3)
	v_fma_f64 v[46:47], v[122:123], s[20:21], -v[44:45]
	v_fma_f64 v[44:45], v[122:123], s[20:21], v[44:45]
	v_add_f64 v[122:123], v[188:189], v[208:209]
	v_add_f64 v[34:35], v[46:47], v[34:35]
	v_mul_f64 v[46:47], v[136:137], s[28:29]
	s_delay_alu instid0(VALU_DEP_4) | instskip(SKIP_2) | instid1(VALU_DEP_4)
	v_add_f64 v[0:1], v[44:45], v[0:1]
	v_fma_f64 v[44:45], v[152:153], s[18:19], v[116:117]
	v_add_f64 v[136:137], v[190:191], v[210:211]
	v_fma_f64 v[54:55], v[138:139], s[20:21], v[46:47]
	v_fma_f64 v[46:47], v[138:139], s[20:21], -v[46:47]
	v_add_f64 v[138:139], v[194:195], -v[206:207]
	s_delay_alu instid0(VALU_DEP_3) | instskip(SKIP_1) | instid1(VALU_DEP_4)
	v_add_f64 v[32:33], v[54:55], v[32:33]
	v_mul_f64 v[54:55], v[140:141], s[38:39]
	v_add_f64 v[36:37], v[46:47], v[36:37]
	v_add_f64 v[140:141], v[192:193], v[204:205]
	s_delay_alu instid0(VALU_DEP_3) | instskip(SKIP_2) | instid1(VALU_DEP_3)
	v_fma_f64 v[60:61], v[142:143], s[16:17], -v[54:55]
	v_fma_f64 v[38:39], v[142:143], s[16:17], v[54:55]
	v_add_f64 v[142:143], v[192:193], -v[204:205]
	v_add_f64 v[34:35], v[60:61], v[34:35]
	v_mul_f64 v[60:61], v[144:145], s[38:39]
	s_delay_alu instid0(VALU_DEP_4) | instskip(SKIP_1) | instid1(VALU_DEP_3)
	v_add_f64 v[0:1], v[38:39], v[0:1]
	v_add_f64 v[144:145], v[194:195], v[206:207]
	v_fma_f64 v[62:63], v[146:147], s[16:17], v[60:61]
	v_fma_f64 v[42:43], v[146:147], s[16:17], -v[60:61]
	v_mul_f64 v[60:61], v[138:139], s[28:29]
	v_add_f64 v[146:147], v[198:199], -v[202:203]
	s_delay_alu instid0(VALU_DEP_4)
	v_add_f64 v[62:63], v[62:63], v[32:33]
	v_fma_f64 v[32:33], v[152:153], s[18:19], -v[116:117]
	v_add_f64 v[38:39], v[42:43], v[36:37]
	v_add_f64 v[36:37], v[44:45], v[0:1]
	v_add_f64 v[0:1], v[186:187], -v[214:215]
	v_add_f64 v[116:117], v[184:185], -v[212:213]
	v_mul_f64 v[150:151], v[146:147], s[30:31]
	v_add_f64 v[152:153], v[196:197], -v[200:201]
	v_add_f64 v[32:33], v[32:33], v[34:35]
	v_fma_f64 v[34:35], v[40:41], s[18:19], v[2:3]
	v_fma_f64 v[2:3], v[40:41], s[18:19], -v[2:3]
	v_mul_f64 v[40:41], v[0:1], s[34:35]
	v_mul_f64 v[48:49], v[116:117], s[34:35]
	s_delay_alu instid0(VALU_DEP_4) | instskip(NEXT) | instid1(VALU_DEP_4)
	v_add_f64 v[34:35], v[34:35], v[62:63]
	v_add_f64 v[38:39], v[2:3], v[38:39]
	;; [unrolled: 1-line block ×3, first 2 shown]
	s_delay_alu instid0(VALU_DEP_4) | instskip(SKIP_2) | instid1(VALU_DEP_4)
	v_fma_f64 v[44:45], v[118:119], s[16:17], v[48:49]
	v_mul_f64 v[62:63], v[142:143], s[28:29]
	v_fma_f64 v[48:49], v[118:119], s[16:17], -v[48:49]
	v_fma_f64 v[42:43], v[2:3], s[16:17], -v[40:41]
	s_delay_alu instid0(VALU_DEP_4)
	v_add_f64 v[44:45], v[44:45], v[124:125]
	v_add_f64 v[124:125], v[188:189], -v[208:209]
	v_fma_f64 v[40:41], v[2:3], s[16:17], v[40:41]
	v_add_f64 v[48:49], v[48:49], v[126:127]
	v_add_f64 v[42:43], v[42:43], v[50:51]
	v_mul_f64 v[50:51], v[120:121], s[22:23]
	v_mul_f64 v[54:55], v[124:125], s[22:23]
	v_add_f64 v[40:41], v[40:41], v[52:53]
	v_mul_f64 v[126:127], v[124:125], s[42:43]
	s_delay_alu instid0(VALU_DEP_4) | instskip(SKIP_1) | instid1(VALU_DEP_2)
	v_fma_f64 v[46:47], v[122:123], s[18:19], -v[50:51]
	v_fma_f64 v[50:51], v[122:123], s[18:19], v[50:51]
	v_add_f64 v[42:43], v[46:47], v[42:43]
	v_fma_f64 v[46:47], v[136:137], s[18:19], v[54:55]
	s_delay_alu instid0(VALU_DEP_3) | instskip(SKIP_1) | instid1(VALU_DEP_3)
	v_add_f64 v[40:41], v[50:51], v[40:41]
	v_fma_f64 v[50:51], v[136:137], s[18:19], -v[54:55]
	v_add_f64 v[44:45], v[46:47], v[44:45]
	v_fma_f64 v[46:47], v[140:141], s[20:21], -v[60:61]
	s_delay_alu instid0(VALU_DEP_3) | instskip(SKIP_2) | instid1(VALU_DEP_4)
	v_add_f64 v[48:49], v[50:51], v[48:49]
	v_fma_f64 v[50:51], v[140:141], s[20:21], v[60:61]
	v_mul_f64 v[60:61], v[116:117], s[28:29]
	v_add_f64 v[42:43], v[46:47], v[42:43]
	v_fma_f64 v[46:47], v[144:145], s[20:21], v[62:63]
	s_delay_alu instid0(VALU_DEP_4)
	v_add_f64 v[40:41], v[50:51], v[40:41]
	v_fma_f64 v[50:51], v[144:145], s[20:21], -v[62:63]
	v_mul_f64 v[62:63], v[120:121], s[42:43]
	v_fma_f64 v[52:53], v[118:119], s[20:21], v[60:61]
	v_fma_f64 v[60:61], v[118:119], s[20:21], -v[60:61]
	v_add_f64 v[46:47], v[46:47], v[44:45]
	v_fma_f64 v[44:45], v[148:149], s[24:25], -v[150:151]
	v_add_f64 v[48:49], v[50:51], v[48:49]
	v_fma_f64 v[50:51], v[148:149], s[24:25], v[150:151]
	v_fma_f64 v[54:55], v[122:123], s[24:25], -v[62:63]
	v_add_f64 v[52:53], v[52:53], v[130:131]
	v_mul_f64 v[130:131], v[142:143], s[40:41]
	v_fma_f64 v[62:63], v[122:123], s[24:25], v[62:63]
	v_mul_f64 v[150:151], v[146:147], s[36:37]
	v_add_f64 v[60:61], v[60:61], v[132:133]
	v_add_f64 v[44:45], v[44:45], v[42:43]
	v_mul_f64 v[42:43], v[152:153], s[30:31]
	v_add_f64 v[40:41], v[50:51], v[40:41]
	s_delay_alu instid0(VALU_DEP_2) | instskip(SKIP_1) | instid1(VALU_DEP_2)
	v_fma_f64 v[242:243], v[154:155], s[24:25], v[42:43]
	v_fma_f64 v[42:43], v[154:155], s[24:25], -v[42:43]
	v_add_f64 v[46:47], v[242:243], v[46:47]
	s_delay_alu instid0(VALU_DEP_2) | instskip(SKIP_1) | instid1(VALU_DEP_1)
	v_add_f64 v[42:43], v[42:43], v[48:49]
	v_mul_f64 v[48:49], v[0:1], s[28:29]
	v_fma_f64 v[50:51], v[2:3], s[20:21], -v[48:49]
	v_fma_f64 v[48:49], v[2:3], s[20:21], v[48:49]
	s_delay_alu instid0(VALU_DEP_2) | instskip(SKIP_1) | instid1(VALU_DEP_3)
	v_add_f64 v[50:51], v[50:51], v[128:129]
	v_mul_f64 v[128:129], v[138:139], s[40:41]
	v_add_f64 v[48:49], v[48:49], v[250:251]
	s_delay_alu instid0(VALU_DEP_3) | instskip(SKIP_1) | instid1(VALU_DEP_3)
	v_add_f64 v[50:51], v[54:55], v[50:51]
	v_fma_f64 v[54:55], v[136:137], s[24:25], v[126:127]
	v_add_f64 v[48:49], v[62:63], v[48:49]
	v_fma_f64 v[62:63], v[136:137], s[24:25], -v[126:127]
	v_mul_f64 v[126:127], v[0:1], s[42:43]
	s_delay_alu instid0(VALU_DEP_4) | instskip(SKIP_1) | instid1(VALU_DEP_4)
	v_add_f64 v[52:53], v[54:55], v[52:53]
	v_fma_f64 v[54:55], v[140:141], s[18:19], -v[128:129]
	v_add_f64 v[60:61], v[62:63], v[60:61]
	v_fma_f64 v[62:63], v[140:141], s[18:19], v[128:129]
	v_mul_f64 v[128:129], v[116:117], s[42:43]
	s_delay_alu instid0(VALU_DEP_4) | instskip(SKIP_1) | instid1(VALU_DEP_4)
	v_add_f64 v[50:51], v[54:55], v[50:51]
	v_fma_f64 v[54:55], v[144:145], s[18:19], v[130:131]
	v_add_f64 v[48:49], v[62:63], v[48:49]
	v_fma_f64 v[62:63], v[144:145], s[18:19], -v[130:131]
	v_mul_f64 v[130:131], v[120:121], s[38:39]
	s_delay_alu instid0(VALU_DEP_4) | instskip(SKIP_1) | instid1(VALU_DEP_4)
	v_add_f64 v[54:55], v[54:55], v[52:53]
	v_fma_f64 v[52:53], v[148:149], s[0:1], -v[150:151]
	v_add_f64 v[60:61], v[62:63], v[60:61]
	v_fma_f64 v[62:63], v[148:149], s[0:1], v[150:151]
	v_fma_f64 v[132:133], v[122:123], s[16:17], -v[130:131]
	s_delay_alu instid0(VALU_DEP_4) | instskip(SKIP_1) | instid1(VALU_DEP_4)
	v_add_f64 v[52:53], v[52:53], v[50:51]
	v_mul_f64 v[50:51], v[152:153], s[36:37]
	v_add_f64 v[48:49], v[62:63], v[48:49]
	v_fma_f64 v[62:63], v[118:119], s[24:25], v[128:129]
	s_delay_alu instid0(VALU_DEP_3) | instskip(SKIP_1) | instid1(VALU_DEP_3)
	v_fma_f64 v[242:243], v[154:155], s[0:1], v[50:51]
	v_fma_f64 v[50:51], v[154:155], s[0:1], -v[50:51]
	v_add_f64 v[62:63], v[62:63], v[254:255]
	s_delay_alu instid0(VALU_DEP_3) | instskip(NEXT) | instid1(VALU_DEP_3)
	v_add_f64 v[54:55], v[242:243], v[54:55]
	v_add_f64 v[50:51], v[50:51], v[60:61]
	v_fma_f64 v[60:61], v[2:3], s[24:25], -v[126:127]
	v_fma_f64 v[126:127], v[2:3], s[24:25], v[126:127]
	s_delay_alu instid0(VALU_DEP_2) | instskip(NEXT) | instid1(VALU_DEP_2)
	v_add_f64 v[60:61], v[60:61], v[134:135]
	v_add_f64 v[58:59], v[126:127], v[58:59]
	v_fma_f64 v[126:127], v[118:119], s[24:25], -v[128:129]
	s_delay_alu instid0(VALU_DEP_3) | instskip(SKIP_1) | instid1(VALU_DEP_3)
	v_add_f64 v[60:61], v[132:133], v[60:61]
	v_mul_f64 v[132:133], v[124:125], s[38:39]
	v_add_f64 v[56:57], v[126:127], v[56:57]
	v_fma_f64 v[126:127], v[122:123], s[16:17], v[130:131]
	s_delay_alu instid0(VALU_DEP_3) | instskip(NEXT) | instid1(VALU_DEP_2)
	v_fma_f64 v[134:135], v[136:137], s[16:17], v[132:133]
	v_add_f64 v[58:59], v[126:127], v[58:59]
	v_fma_f64 v[126:127], v[136:137], s[16:17], -v[132:133]
	s_delay_alu instid0(VALU_DEP_3) | instskip(SKIP_1) | instid1(VALU_DEP_3)
	v_add_f64 v[62:63], v[134:135], v[62:63]
	v_mul_f64 v[134:135], v[138:139], s[26:27]
	v_add_f64 v[56:57], v[126:127], v[56:57]
	s_delay_alu instid0(VALU_DEP_2) | instskip(SKIP_1) | instid1(VALU_DEP_2)
	v_fma_f64 v[150:151], v[140:141], s[0:1], -v[134:135]
	v_fma_f64 v[126:127], v[140:141], s[0:1], v[134:135]
	v_add_f64 v[60:61], v[150:151], v[60:61]
	v_mul_f64 v[150:151], v[142:143], s[26:27]
	s_delay_alu instid0(VALU_DEP_3) | instskip(NEXT) | instid1(VALU_DEP_2)
	v_add_f64 v[58:59], v[126:127], v[58:59]
	v_fma_f64 v[242:243], v[144:145], s[0:1], v[150:151]
	v_fma_f64 v[126:127], v[144:145], s[0:1], -v[150:151]
	s_delay_alu instid0(VALU_DEP_2) | instskip(SKIP_1) | instid1(VALU_DEP_3)
	v_add_f64 v[62:63], v[242:243], v[62:63]
	v_mul_f64 v[242:243], v[146:147], s[28:29]
	v_add_f64 v[126:127], v[126:127], v[56:57]
	s_delay_alu instid0(VALU_DEP_2) | instskip(SKIP_1) | instid1(VALU_DEP_2)
	v_fma_f64 v[250:251], v[148:149], s[20:21], -v[242:243]
	v_fma_f64 v[56:57], v[148:149], s[20:21], v[242:243]
	v_add_f64 v[60:61], v[250:251], v[60:61]
	v_mul_f64 v[250:251], v[152:153], s[28:29]
	s_delay_alu instid0(VALU_DEP_3) | instskip(NEXT) | instid1(VALU_DEP_2)
	v_add_f64 v[56:57], v[56:57], v[58:59]
	v_fma_f64 v[128:129], v[154:155], s[20:21], -v[250:251]
	v_fma_f64 v[254:255], v[154:155], s[20:21], v[250:251]
	v_mul_f64 v[250:251], v[146:147], s[38:39]
	s_delay_alu instid0(VALU_DEP_3) | instskip(SKIP_1) | instid1(VALU_DEP_4)
	v_add_f64 v[58:59], v[128:129], v[126:127]
	v_mul_f64 v[126:127], v[0:1], s[40:41]
	v_add_f64 v[62:63], v[254:255], v[62:63]
	v_mul_f64 v[254:255], v[152:153], s[38:39]
	v_mul_f64 v[0:1], v[0:1], s[36:37]
	s_delay_alu instid0(VALU_DEP_4) | instskip(SKIP_1) | instid1(VALU_DEP_2)
	v_fma_f64 v[128:129], v[2:3], s[18:19], -v[126:127]
	v_fma_f64 v[126:127], v[2:3], s[18:19], v[126:127]
	v_add_f64 v[70:71], v[128:129], v[70:71]
	v_mul_f64 v[128:129], v[116:117], s[40:41]
	s_delay_alu instid0(VALU_DEP_3) | instskip(SKIP_1) | instid1(VALU_DEP_3)
	v_add_f64 v[66:67], v[126:127], v[66:67]
	v_mul_f64 v[116:117], v[116:117], s[36:37]
	v_fma_f64 v[130:131], v[118:119], s[18:19], v[128:129]
	v_fma_f64 v[126:127], v[118:119], s[18:19], -v[128:129]
	v_fma_f64 v[128:129], v[154:155], s[16:17], -v[254:255]
	s_delay_alu instid0(VALU_DEP_3) | instskip(SKIP_1) | instid1(VALU_DEP_4)
	v_add_f64 v[68:69], v[130:131], v[68:69]
	v_mul_f64 v[130:131], v[120:121], s[26:27]
	v_add_f64 v[64:65], v[126:127], v[64:65]
	v_mul_f64 v[120:121], v[120:121], s[28:29]
	s_delay_alu instid0(VALU_DEP_3) | instskip(SKIP_1) | instid1(VALU_DEP_2)
	v_fma_f64 v[132:133], v[122:123], s[0:1], -v[130:131]
	v_fma_f64 v[126:127], v[122:123], s[0:1], v[130:131]
	v_add_f64 v[70:71], v[132:133], v[70:71]
	v_mul_f64 v[132:133], v[124:125], s[26:27]
	s_delay_alu instid0(VALU_DEP_3) | instskip(SKIP_1) | instid1(VALU_DEP_3)
	v_add_f64 v[66:67], v[126:127], v[66:67]
	v_mul_f64 v[124:125], v[124:125], s[28:29]
	v_fma_f64 v[134:135], v[136:137], s[0:1], v[132:133]
	v_fma_f64 v[126:127], v[136:137], s[0:1], -v[132:133]
	v_mul_f64 v[132:133], v[146:147], s[22:23]
	s_delay_alu instid0(VALU_DEP_3) | instskip(SKIP_1) | instid1(VALU_DEP_4)
	v_add_f64 v[68:69], v[134:135], v[68:69]
	v_mul_f64 v[134:135], v[138:139], s[30:31]
	v_add_f64 v[64:65], v[126:127], v[64:65]
	s_delay_alu instid0(VALU_DEP_2) | instskip(SKIP_3) | instid1(VALU_DEP_4)
	v_fma_f64 v[150:151], v[140:141], s[24:25], -v[134:135]
	v_fma_f64 v[126:127], v[140:141], s[24:25], v[134:135]
	v_mul_f64 v[134:135], v[152:153], s[22:23]
	v_add_f64 v[152:153], v[112:113], v[222:223]
	v_add_f64 v[70:71], v[150:151], v[70:71]
	v_mul_f64 v[150:151], v[142:143], s[30:31]
	v_add_f64 v[66:67], v[126:127], v[66:67]
	s_delay_alu instid0(VALU_DEP_2) | instskip(SKIP_2) | instid1(VALU_DEP_3)
	v_fma_f64 v[126:127], v[144:145], s[24:25], -v[150:151]
	v_fma_f64 v[242:243], v[144:145], s[24:25], v[150:151]
	v_add_f64 v[150:151], v[114:115], v[226:227]
	v_add_f64 v[126:127], v[126:127], v[64:65]
	v_fma_f64 v[64:65], v[148:149], s[16:17], v[250:251]
	s_delay_alu instid0(VALU_DEP_4) | instskip(SKIP_1) | instid1(VALU_DEP_3)
	v_add_f64 v[242:243], v[242:243], v[68:69]
	v_fma_f64 v[68:69], v[148:149], s[16:17], -v[250:251]
	v_add_f64 v[64:65], v[64:65], v[66:67]
	v_add_f64 v[66:67], v[128:129], v[126:127]
	v_fma_f64 v[126:127], v[2:3], s[0:1], -v[0:1]
	v_fma_f64 v[0:1], v[2:3], s[0:1], v[0:1]
	v_fma_f64 v[2:3], v[118:119], s[0:1], -v[116:117]
	v_add_f64 v[68:69], v[68:69], v[70:71]
	v_fma_f64 v[70:71], v[154:155], s[16:17], v[254:255]
	v_add_f64 v[74:75], v[126:127], v[74:75]
	v_fma_f64 v[126:127], v[118:119], s[0:1], v[116:117]
	v_add_f64 v[0:1], v[0:1], v[76:77]
	v_add_f64 v[2:3], v[2:3], v[78:79]
	v_fma_f64 v[76:77], v[122:123], s[20:21], v[120:121]
	v_fma_f64 v[78:79], v[136:137], s[20:21], -v[124:125]
	v_add_f64 v[70:71], v[70:71], v[242:243]
	v_add_f64 v[72:73], v[126:127], v[72:73]
	v_fma_f64 v[126:127], v[122:123], s[20:21], -v[120:121]
	v_add_f64 v[0:1], v[76:77], v[0:1]
	v_add_f64 v[2:3], v[78:79], v[2:3]
	s_delay_alu instid0(VALU_DEP_3) | instskip(SKIP_1) | instid1(VALU_DEP_1)
	v_add_f64 v[74:75], v[126:127], v[74:75]
	v_fma_f64 v[126:127], v[136:137], s[20:21], v[124:125]
	v_add_f64 v[72:73], v[126:127], v[72:73]
	v_mul_f64 v[126:127], v[138:139], s[38:39]
	s_delay_alu instid0(VALU_DEP_1) | instskip(SKIP_1) | instid1(VALU_DEP_2)
	v_fma_f64 v[128:129], v[140:141], s[16:17], -v[126:127]
	v_fma_f64 v[76:77], v[140:141], s[16:17], v[126:127]
	v_add_f64 v[74:75], v[128:129], v[74:75]
	v_mul_f64 v[128:129], v[142:143], s[38:39]
	s_delay_alu instid0(VALU_DEP_3) | instskip(SKIP_1) | instid1(VALU_DEP_3)
	v_add_f64 v[0:1], v[76:77], v[0:1]
	v_fma_f64 v[76:77], v[148:149], s[18:19], v[132:133]
	v_fma_f64 v[78:79], v[144:145], s[16:17], -v[128:129]
	v_fma_f64 v[130:131], v[144:145], s[16:17], v[128:129]
	s_delay_alu instid0(VALU_DEP_3)
	v_add_f64 v[76:77], v[76:77], v[0:1]
	scratch_load_b64 v[0:1], off, off offset:1040 ; 8-byte Folded Reload
	v_add_f64 v[2:3], v[78:79], v[2:3]
	v_fma_f64 v[78:79], v[154:155], s[18:19], -v[134:135]
	v_add_f64 v[130:131], v[130:131], v[72:73]
	v_fma_f64 v[72:73], v[148:149], s[18:19], -v[132:133]
	s_delay_alu instid0(VALU_DEP_3) | instskip(SKIP_4) | instid1(VALU_DEP_2)
	v_add_f64 v[78:79], v[78:79], v[2:3]
	scratch_load_b64 v[2:3], off, off offset:1076 ; 8-byte Folded Reload
	v_add_f64 v[72:73], v[72:73], v[74:75]
	v_fma_f64 v[74:75], v[154:155], s[18:19], v[134:135]
	v_add_f64 v[154:155], v[112:113], -v[222:223]
	v_add_f64 v[74:75], v[74:75], v[130:131]
	s_waitcnt vmcnt(1)
	v_add_f64 v[0:1], v[0:1], v[84:85]
	s_delay_alu instid0(VALU_DEP_1) | instskip(SKIP_2) | instid1(VALU_DEP_2)
	v_add_f64 v[0:1], v[0:1], v[88:89]
	s_waitcnt vmcnt(0)
	v_add_f64 v[2:3], v[2:3], v[86:87]
	v_add_f64 v[0:1], v[0:1], v[96:97]
	s_delay_alu instid0(VALU_DEP_2) | instskip(NEXT) | instid1(VALU_DEP_2)
	v_add_f64 v[2:3], v[2:3], v[90:91]
	v_add_f64 v[0:1], v[0:1], v[158:159]
	s_delay_alu instid0(VALU_DEP_2) | instskip(NEXT) | instid1(VALU_DEP_2)
	v_add_f64 v[2:3], v[2:3], v[98:99]
	v_add_f64 v[0:1], v[0:1], v[164:165]
	v_add_f64 v[164:165], v[100:101], -v[106:107]
	s_delay_alu instid0(VALU_DEP_3) | instskip(NEXT) | instid1(VALU_DEP_3)
	v_add_f64 v[2:3], v[2:3], v[160:161]
	v_add_f64 v[0:1], v[0:1], v[168:169]
	ds_load_b128 v[158:161], v252 offset:1632
	s_waitcnt lgkmcnt(0)
	s_waitcnt_vscnt null, 0x0
	s_barrier
	buffer_gl0_inv
	v_add_f64 v[2:3], v[2:3], v[166:167]
	v_add_f64 v[0:1], v[0:1], v[80:81]
	v_add_f64 v[80:81], v[224:225], -v[230:231]
	v_add_f64 v[166:167], v[234:235], -v[94:95]
	s_delay_alu instid0(VALU_DEP_4) | instskip(NEXT) | instid1(VALU_DEP_4)
	v_add_f64 v[2:3], v[2:3], v[170:171]
	v_add_f64 v[0:1], v[0:1], v[176:177]
	s_delay_alu instid0(VALU_DEP_4)
	v_mul_f64 v[116:117], v[80:81], s[26:27]
	v_mul_f64 v[118:119], v[80:81], s[34:35]
	;; [unrolled: 1-line block ×6, first 2 shown]
	v_add_f64 v[176:177], v[108:109], v[162:163]
	v_add_f64 v[2:3], v[2:3], v[82:83]
	;; [unrolled: 1-line block ×9, first 2 shown]
	s_delay_alu instid0(VALU_DEP_3) | instskip(SKIP_1) | instid1(VALU_DEP_3)
	v_add_f64 v[98:99], v[2:3], v[182:183]
	v_add_f64 v[2:3], v[238:239], v[186:187]
	v_add_f64 v[0:1], v[0:1], v[192:193]
	v_add_f64 v[186:187], v[100:101], v[106:107]
	v_add_f64 v[192:193], v[234:235], v[94:95]
	s_delay_alu instid0(VALU_DEP_4) | instskip(NEXT) | instid1(VALU_DEP_4)
	v_add_f64 v[2:3], v[2:3], v[190:191]
	v_add_f64 v[0:1], v[0:1], v[196:197]
	v_mul_f64 v[190:191], v[164:165], s[28:29]
	v_add_f64 v[196:197], v[245:246], -v[92:93]
	s_delay_alu instid0(VALU_DEP_4) | instskip(NEXT) | instid1(VALU_DEP_4)
	v_add_f64 v[2:3], v[2:3], v[194:195]
	v_add_f64 v[0:1], v[0:1], v[200:201]
	;; [unrolled: 1-line block ×3, first 2 shown]
	s_delay_alu instid0(VALU_DEP_4) | instskip(NEXT) | instid1(VALU_DEP_4)
	v_mul_f64 v[200:201], v[196:197], s[30:31]
	v_add_f64 v[2:3], v[2:3], v[198:199]
	s_delay_alu instid0(VALU_DEP_4) | instskip(SKIP_1) | instid1(VALU_DEP_3)
	v_add_f64 v[0:1], v[0:1], v[204:205]
	v_mul_f64 v[198:199], v[166:167], s[30:31]
	v_add_f64 v[2:3], v[2:3], v[202:203]
	s_delay_alu instid0(VALU_DEP_3) | instskip(NEXT) | instid1(VALU_DEP_2)
	v_add_f64 v[0:1], v[0:1], v[208:209]
	v_add_f64 v[2:3], v[2:3], v[206:207]
	s_delay_alu instid0(VALU_DEP_2) | instskip(NEXT) | instid1(VALU_DEP_2)
	v_add_f64 v[0:1], v[0:1], v[212:213]
	v_add_f64 v[2:3], v[2:3], v[210:211]
	s_delay_alu instid0(VALU_DEP_2) | instskip(SKIP_1) | instid1(VALU_DEP_3)
	v_add_f64 v[88:89], v[0:1], v[216:217]
	v_add_f64 v[0:1], v[160:161], v[224:225]
	;; [unrolled: 1-line block ×3, first 2 shown]
	s_delay_alu instid0(VALU_DEP_2) | instskip(NEXT) | instid1(VALU_DEP_2)
	v_add_f64 v[0:1], v[0:1], v[114:115]
	v_add_f64 v[90:91], v[2:3], v[218:219]
	;; [unrolled: 1-line block ×3, first 2 shown]
	s_delay_alu instid0(VALU_DEP_3)
	v_add_f64 v[0:1], v[0:1], v[108:109]
	ds_store_b128 v252, v[96:99]
	ds_store_b128 v252, v[4:7] offset:816
	ds_store_b128 v252, v[12:15] offset:1632
	;; [unrolled: 1-line block ×21, first 2 shown]
	v_add_f64 v[2:3], v[2:3], v[112:113]
	v_add_f64 v[0:1], v[0:1], v[102:103]
	s_delay_alu instid0(VALU_DEP_2) | instskip(NEXT) | instid1(VALU_DEP_2)
	v_add_f64 v[2:3], v[2:3], v[104:105]
	v_add_f64 v[0:1], v[0:1], v[234:235]
	s_delay_alu instid0(VALU_DEP_2) | instskip(NEXT) | instid1(VALU_DEP_2)
	;; [unrolled: 3-line block ×4, first 2 shown]
	v_add_f64 v[2:3], v[2:3], v[92:93]
	v_add_f64 v[0:1], v[0:1], v[162:163]
	v_fma_f64 v[92:93], v[194:195], s[24:25], -v[198:199]
	s_delay_alu instid0(VALU_DEP_3) | instskip(NEXT) | instid1(VALU_DEP_3)
	v_add_f64 v[2:3], v[2:3], v[106:107]
	v_add_f64 v[0:1], v[0:1], v[226:227]
	s_delay_alu instid0(VALU_DEP_2) | instskip(NEXT) | instid1(VALU_DEP_2)
	v_add_f64 v[2:3], v[2:3], v[156:157]
	v_add_f64 v[86:87], v[0:1], v[230:231]
	v_add_f64 v[0:1], v[220:221], v[228:229]
	s_delay_alu instid0(VALU_DEP_3) | instskip(NEXT) | instid1(VALU_DEP_2)
	v_add_f64 v[2:3], v[2:3], v[222:223]
	v_fma_f64 v[124:125], v[0:1], s[0:1], -v[116:117]
	v_fma_f64 v[116:117], v[0:1], s[0:1], v[116:117]
	v_fma_f64 v[126:127], v[0:1], s[16:17], -v[118:119]
	v_fma_f64 v[118:119], v[0:1], s[16:17], v[118:119]
	;; [unrolled: 2-line block ×5, first 2 shown]
	v_add_f64 v[84:85], v[2:3], v[228:229]
	v_add_f64 v[2:3], v[220:221], -v[228:229]
	v_add_f64 v[116:117], v[158:159], v[116:117]
	v_add_f64 v[118:119], v[158:159], v[118:119]
	;; [unrolled: 1-line block ×8, first 2 shown]
	v_mul_f64 v[80:81], v[2:3], s[26:27]
	v_mul_f64 v[134:135], v[2:3], s[34:35]
	;; [unrolled: 1-line block ×5, first 2 shown]
	v_fma_f64 v[140:141], v[82:83], s[0:1], v[80:81]
	v_fma_f64 v[80:81], v[82:83], s[0:1], -v[80:81]
	v_fma_f64 v[142:143], v[82:83], s[16:17], v[134:135]
	v_fma_f64 v[144:145], v[82:83], s[18:19], v[136:137]
	;; [unrolled: 1-line block ×4, first 2 shown]
	v_fma_f64 v[134:135], v[82:83], s[16:17], -v[134:135]
	v_fma_f64 v[136:137], v[82:83], s[18:19], -v[136:137]
	;; [unrolled: 1-line block ×4, first 2 shown]
	v_add_f64 v[82:83], v[158:159], v[124:125]
	v_add_f64 v[124:125], v[160:161], v[140:141]
	;; [unrolled: 1-line block ×8, first 2 shown]
	v_add_f64 v[148:149], v[114:115], -v[226:227]
	v_add_f64 v[134:135], v[160:161], v[134:135]
	v_add_f64 v[136:137], v[160:161], v[136:137]
	;; [unrolled: 1-line block ×4, first 2 shown]
	v_add_f64 v[160:161], v[104:105], -v[156:157]
	v_mul_f64 v[114:115], v[164:165], s[40:41]
	v_mul_f64 v[168:169], v[148:149], s[34:35]
	s_delay_alu instid0(VALU_DEP_3) | instskip(NEXT) | instid1(VALU_DEP_2)
	v_mul_f64 v[182:183], v[160:161], s[22:23]
	v_fma_f64 v[112:113], v[152:153], s[16:17], -v[168:169]
	s_delay_alu instid0(VALU_DEP_1) | instskip(SKIP_1) | instid1(VALU_DEP_1)
	v_add_f64 v[82:83], v[112:113], v[82:83]
	v_fma_f64 v[112:113], v[150:151], s[16:17], v[170:171]
	v_add_f64 v[112:113], v[112:113], v[124:125]
	v_add_f64 v[124:125], v[108:109], -v[162:163]
	v_add_f64 v[162:163], v[102:103], -v[110:111]
	v_mul_f64 v[110:111], v[160:161], s[42:43]
	s_delay_alu instid0(VALU_DEP_3) | instskip(NEXT) | instid1(VALU_DEP_3)
	v_mul_f64 v[180:181], v[124:125], s[22:23]
	v_mul_f64 v[188:189], v[162:163], s[28:29]
	;; [unrolled: 1-line block ×3, first 2 shown]
	s_delay_alu instid0(VALU_DEP_3) | instskip(NEXT) | instid1(VALU_DEP_3)
	v_fma_f64 v[104:105], v[178:179], s[18:19], -v[180:181]
	v_fma_f64 v[100:101], v[186:187], s[20:21], -v[188:189]
	s_delay_alu instid0(VALU_DEP_2) | instskip(SKIP_1) | instid1(VALU_DEP_2)
	v_add_f64 v[82:83], v[104:105], v[82:83]
	v_fma_f64 v[104:105], v[176:177], s[18:19], v[182:183]
	v_add_f64 v[82:83], v[100:101], v[82:83]
	s_delay_alu instid0(VALU_DEP_2) | instskip(SKIP_2) | instid1(VALU_DEP_2)
	v_add_f64 v[104:105], v[104:105], v[112:113]
	v_fma_f64 v[100:101], v[184:185], s[20:21], v[190:191]
	v_mul_f64 v[112:113], v[162:163], s[40:41]
	v_add_f64 v[102:103], v[100:101], v[104:105]
	v_add_f64 v[100:101], v[92:93], v[82:83]
	v_fma_f64 v[82:83], v[192:193], s[24:25], v[200:201]
	v_fma_f64 v[104:105], v[178:179], s[24:25], -v[108:109]
	s_delay_alu instid0(VALU_DEP_2) | instskip(SKIP_1) | instid1(VALU_DEP_1)
	v_add_f64 v[102:103], v[82:83], v[102:103]
	v_mul_f64 v[82:83], v[148:149], s[28:29]
	v_fma_f64 v[92:93], v[152:153], s[20:21], -v[82:83]
	v_fma_f64 v[82:83], v[152:153], s[20:21], v[82:83]
	s_delay_alu instid0(VALU_DEP_2) | instskip(SKIP_1) | instid1(VALU_DEP_3)
	v_add_f64 v[80:81], v[92:93], v[80:81]
	v_mul_f64 v[92:93], v[154:155], s[28:29]
	v_add_f64 v[82:83], v[82:83], v[118:119]
	v_mul_f64 v[118:119], v[160:161], s[38:39]
	s_delay_alu instid0(VALU_DEP_4) | instskip(NEXT) | instid1(VALU_DEP_4)
	v_add_f64 v[80:81], v[104:105], v[80:81]
	v_fma_f64 v[94:95], v[150:151], s[20:21], v[92:93]
	v_fma_f64 v[104:105], v[176:177], s[24:25], v[110:111]
	v_fma_f64 v[92:93], v[150:151], s[20:21], -v[92:93]
	s_delay_alu instid0(VALU_DEP_3) | instskip(SKIP_1) | instid1(VALU_DEP_3)
	v_add_f64 v[94:95], v[94:95], v[126:127]
	v_mul_f64 v[126:127], v[166:167], s[36:37]
	v_add_f64 v[92:93], v[92:93], v[134:135]
	v_mul_f64 v[134:135], v[166:167], s[28:29]
	s_delay_alu instid0(VALU_DEP_4) | instskip(SKIP_1) | instid1(VALU_DEP_1)
	v_add_f64 v[94:95], v[104:105], v[94:95]
	v_fma_f64 v[104:105], v[186:187], s[18:19], -v[112:113]
	v_add_f64 v[80:81], v[104:105], v[80:81]
	v_fma_f64 v[104:105], v[184:185], s[18:19], v[114:115]
	s_delay_alu instid0(VALU_DEP_1) | instskip(SKIP_1) | instid1(VALU_DEP_1)
	v_add_f64 v[94:95], v[104:105], v[94:95]
	v_fma_f64 v[104:105], v[194:195], s[0:1], -v[126:127]
	v_add_f64 v[104:105], v[104:105], v[80:81]
	v_mul_f64 v[80:81], v[196:197], s[36:37]
	s_delay_alu instid0(VALU_DEP_1) | instskip(NEXT) | instid1(VALU_DEP_1)
	v_fma_f64 v[106:107], v[192:193], s[0:1], v[80:81]
	v_add_f64 v[106:107], v[106:107], v[94:95]
	v_fma_f64 v[94:95], v[178:179], s[24:25], v[108:109]
	v_fma_f64 v[108:109], v[192:193], s[0:1], -v[80:81]
	s_delay_alu instid0(VALU_DEP_2) | instskip(SKIP_1) | instid1(VALU_DEP_1)
	v_add_f64 v[82:83], v[94:95], v[82:83]
	v_fma_f64 v[94:95], v[176:177], s[24:25], -v[110:111]
	v_add_f64 v[92:93], v[94:95], v[92:93]
	v_fma_f64 v[94:95], v[186:187], s[18:19], v[112:113]
	v_mul_f64 v[112:113], v[154:155], s[42:43]
	s_delay_alu instid0(VALU_DEP_2) | instskip(SKIP_2) | instid1(VALU_DEP_2)
	v_add_f64 v[82:83], v[94:95], v[82:83]
	v_fma_f64 v[94:95], v[184:185], s[18:19], -v[114:115]
	v_mul_f64 v[114:115], v[124:125], s[38:39]
	v_add_f64 v[92:93], v[94:95], v[92:93]
	v_fma_f64 v[94:95], v[194:195], s[0:1], v[126:127]
	s_delay_alu instid0(VALU_DEP_3) | instskip(SKIP_2) | instid1(VALU_DEP_4)
	v_fma_f64 v[110:111], v[178:179], s[16:17], -v[114:115]
	v_mul_f64 v[126:127], v[162:163], s[26:27]
	v_fma_f64 v[114:115], v[178:179], s[16:17], v[114:115]
	v_add_f64 v[80:81], v[94:95], v[82:83]
	v_add_f64 v[82:83], v[108:109], v[92:93]
	v_mul_f64 v[92:93], v[148:149], s[42:43]
	v_fma_f64 v[108:109], v[150:151], s[24:25], v[112:113]
	v_fma_f64 v[112:113], v[150:151], s[24:25], -v[112:113]
	s_delay_alu instid0(VALU_DEP_3) | instskip(NEXT) | instid1(VALU_DEP_3)
	v_fma_f64 v[94:95], v[152:153], s[24:25], -v[92:93]
	v_add_f64 v[108:109], v[108:109], v[142:143]
	v_fma_f64 v[92:93], v[152:153], s[24:25], v[92:93]
	s_delay_alu instid0(VALU_DEP_4) | instskip(NEXT) | instid1(VALU_DEP_4)
	v_add_f64 v[112:113], v[112:113], v[136:137]
	v_add_f64 v[94:95], v[94:95], v[128:129]
	v_mul_f64 v[128:129], v[164:165], s[26:27]
	s_delay_alu instid0(VALU_DEP_4) | instskip(SKIP_1) | instid1(VALU_DEP_4)
	v_add_f64 v[92:93], v[92:93], v[120:121]
	v_mul_f64 v[120:121], v[154:155], s[40:41]
	v_add_f64 v[94:95], v[110:111], v[94:95]
	v_fma_f64 v[110:111], v[176:177], s[16:17], v[118:119]
	s_delay_alu instid0(VALU_DEP_4) | instskip(SKIP_2) | instid1(VALU_DEP_4)
	v_add_f64 v[92:93], v[114:115], v[92:93]
	v_fma_f64 v[114:115], v[176:177], s[16:17], -v[118:119]
	v_mul_f64 v[118:119], v[148:149], s[40:41]
	v_add_f64 v[108:109], v[110:111], v[108:109]
	v_fma_f64 v[110:111], v[186:187], s[0:1], -v[126:127]
	s_delay_alu instid0(VALU_DEP_4)
	v_add_f64 v[112:113], v[114:115], v[112:113]
	v_fma_f64 v[114:115], v[186:187], s[0:1], v[126:127]
	v_mul_f64 v[126:127], v[124:125], s[26:27]
	v_mul_f64 v[124:125], v[124:125], s[28:29]
	v_add_f64 v[94:95], v[110:111], v[94:95]
	v_fma_f64 v[110:111], v[184:185], s[0:1], v[128:129]
	v_add_f64 v[92:93], v[114:115], v[92:93]
	v_fma_f64 v[114:115], v[184:185], s[0:1], -v[128:129]
	v_fma_f64 v[128:129], v[178:179], s[0:1], -v[126:127]
	s_delay_alu instid0(VALU_DEP_4) | instskip(SKIP_1) | instid1(VALU_DEP_4)
	v_add_f64 v[110:111], v[110:111], v[108:109]
	v_fma_f64 v[108:109], v[194:195], s[20:21], -v[134:135]
	v_add_f64 v[112:113], v[114:115], v[112:113]
	v_fma_f64 v[114:115], v[194:195], s[20:21], v[134:135]
	s_delay_alu instid0(VALU_DEP_3) | instskip(SKIP_1) | instid1(VALU_DEP_3)
	v_add_f64 v[108:109], v[108:109], v[94:95]
	v_mul_f64 v[94:95], v[196:197], s[28:29]
	v_add_f64 v[92:93], v[114:115], v[92:93]
	v_fma_f64 v[114:115], v[150:151], s[18:19], v[120:121]
	v_fma_f64 v[120:121], v[150:151], s[18:19], -v[120:121]
	s_delay_alu instid0(VALU_DEP_4) | instskip(SKIP_1) | instid1(VALU_DEP_4)
	v_fma_f64 v[142:143], v[192:193], s[20:21], v[94:95]
	v_fma_f64 v[94:95], v[192:193], s[20:21], -v[94:95]
	v_add_f64 v[114:115], v[114:115], v[144:145]
	s_delay_alu instid0(VALU_DEP_4) | instskip(NEXT) | instid1(VALU_DEP_4)
	v_add_f64 v[120:121], v[120:121], v[138:139]
	v_add_f64 v[110:111], v[142:143], v[110:111]
	s_delay_alu instid0(VALU_DEP_4) | instskip(SKIP_2) | instid1(VALU_DEP_2)
	v_add_f64 v[94:95], v[94:95], v[112:113]
	v_fma_f64 v[112:113], v[152:153], s[18:19], -v[118:119]
	v_fma_f64 v[118:119], v[152:153], s[18:19], v[118:119]
	v_add_f64 v[112:113], v[112:113], v[130:131]
	s_delay_alu instid0(VALU_DEP_2) | instskip(SKIP_1) | instid1(VALU_DEP_3)
	v_add_f64 v[118:119], v[118:119], v[122:123]
	v_fma_f64 v[122:123], v[178:179], s[0:1], v[126:127]
	v_add_f64 v[112:113], v[128:129], v[112:113]
	v_mul_f64 v[128:129], v[160:161], s[26:27]
	s_delay_alu instid0(VALU_DEP_3) | instskip(NEXT) | instid1(VALU_DEP_2)
	v_add_f64 v[118:119], v[122:123], v[118:119]
	v_fma_f64 v[130:131], v[176:177], s[0:1], v[128:129]
	v_fma_f64 v[122:123], v[176:177], s[0:1], -v[128:129]
	v_fma_f64 v[128:129], v[178:179], s[20:21], -v[124:125]
	s_delay_alu instid0(VALU_DEP_3) | instskip(SKIP_1) | instid1(VALU_DEP_4)
	v_add_f64 v[114:115], v[130:131], v[114:115]
	v_mul_f64 v[130:131], v[162:163], s[30:31]
	v_add_f64 v[120:121], v[122:123], v[120:121]
	s_delay_alu instid0(VALU_DEP_2) | instskip(SKIP_1) | instid1(VALU_DEP_2)
	v_fma_f64 v[134:135], v[186:187], s[24:25], -v[130:131]
	v_fma_f64 v[122:123], v[186:187], s[24:25], v[130:131]
	v_add_f64 v[112:113], v[134:135], v[112:113]
	v_mul_f64 v[134:135], v[164:165], s[30:31]
	s_delay_alu instid0(VALU_DEP_3) | instskip(NEXT) | instid1(VALU_DEP_2)
	v_add_f64 v[118:119], v[122:123], v[118:119]
	v_fma_f64 v[136:137], v[184:185], s[24:25], v[134:135]
	v_fma_f64 v[122:123], v[184:185], s[24:25], -v[134:135]
	s_delay_alu instid0(VALU_DEP_2) | instskip(SKIP_1) | instid1(VALU_DEP_3)
	v_add_f64 v[114:115], v[136:137], v[114:115]
	v_mul_f64 v[136:137], v[166:167], s[38:39]
	v_add_f64 v[120:121], v[122:123], v[120:121]
	s_delay_alu instid0(VALU_DEP_2) | instskip(SKIP_2) | instid1(VALU_DEP_3)
	v_fma_f64 v[142:143], v[194:195], s[16:17], -v[136:137]
	v_fma_f64 v[122:123], v[194:195], s[16:17], v[136:137]
	v_mul_f64 v[136:137], v[196:197], s[22:23]
	v_add_f64 v[112:113], v[142:143], v[112:113]
	v_mul_f64 v[142:143], v[196:197], s[38:39]
	s_delay_alu instid0(VALU_DEP_4) | instskip(SKIP_2) | instid1(VALU_DEP_4)
	v_add_f64 v[156:157], v[122:123], v[118:119]
	v_mul_f64 v[118:119], v[148:149], s[36:37]
	v_mul_f64 v[122:123], v[154:155], s[36:37]
	v_fma_f64 v[126:127], v[192:193], s[16:17], -v[142:143]
	v_fma_f64 v[144:145], v[192:193], s[16:17], v[142:143]
	s_delay_alu instid0(VALU_DEP_2) | instskip(SKIP_4) | instid1(VALU_DEP_4)
	v_add_f64 v[158:159], v[126:127], v[120:121]
	v_fma_f64 v[120:121], v[152:153], s[0:1], -v[118:119]
	v_fma_f64 v[126:127], v[150:151], s[0:1], v[122:123]
	v_fma_f64 v[118:119], v[152:153], s[0:1], v[118:119]
	v_add_f64 v[114:115], v[144:145], v[114:115]
	v_add_f64 v[120:121], v[120:121], v[132:133]
	s_delay_alu instid0(VALU_DEP_4) | instskip(NEXT) | instid1(VALU_DEP_4)
	v_add_f64 v[126:127], v[126:127], v[146:147]
	v_add_f64 v[0:1], v[118:119], v[0:1]
	v_fma_f64 v[118:119], v[150:151], s[0:1], -v[122:123]
	s_delay_alu instid0(VALU_DEP_4) | instskip(SKIP_1) | instid1(VALU_DEP_3)
	v_add_f64 v[120:121], v[128:129], v[120:121]
	v_mul_f64 v[128:129], v[160:161], s[28:29]
	v_add_f64 v[2:3], v[118:119], v[2:3]
	v_fma_f64 v[118:119], v[178:179], s[20:21], v[124:125]
	s_delay_alu instid0(VALU_DEP_3) | instskip(NEXT) | instid1(VALU_DEP_2)
	v_fma_f64 v[130:131], v[176:177], s[20:21], v[128:129]
	v_add_f64 v[0:1], v[118:119], v[0:1]
	v_fma_f64 v[118:119], v[176:177], s[20:21], -v[128:129]
	s_delay_alu instid0(VALU_DEP_3) | instskip(SKIP_1) | instid1(VALU_DEP_3)
	v_add_f64 v[126:127], v[130:131], v[126:127]
	v_mul_f64 v[130:131], v[162:163], s[38:39]
	v_add_f64 v[2:3], v[118:119], v[2:3]
	s_delay_alu instid0(VALU_DEP_2) | instskip(SKIP_1) | instid1(VALU_DEP_2)
	v_fma_f64 v[132:133], v[186:187], s[16:17], -v[130:131]
	v_fma_f64 v[118:119], v[186:187], s[16:17], v[130:131]
	v_add_f64 v[120:121], v[132:133], v[120:121]
	v_mul_f64 v[132:133], v[164:165], s[38:39]
	s_delay_alu instid0(VALU_DEP_3) | instskip(NEXT) | instid1(VALU_DEP_2)
	v_add_f64 v[0:1], v[118:119], v[0:1]
	v_fma_f64 v[134:135], v[184:185], s[16:17], v[132:133]
	v_fma_f64 v[118:119], v[184:185], s[16:17], -v[132:133]
	s_delay_alu instid0(VALU_DEP_2) | instskip(SKIP_1) | instid1(VALU_DEP_3)
	v_add_f64 v[126:127], v[134:135], v[126:127]
	v_mul_f64 v[134:135], v[166:167], s[22:23]
	v_add_f64 v[2:3], v[118:119], v[2:3]
	s_delay_alu instid0(VALU_DEP_2) | instskip(SKIP_1) | instid1(VALU_DEP_2)
	v_fma_f64 v[118:119], v[194:195], s[18:19], v[134:135]
	v_fma_f64 v[138:139], v[194:195], s[18:19], -v[134:135]
	v_add_f64 v[164:165], v[118:119], v[0:1]
	v_fma_f64 v[0:1], v[152:153], s[16:17], v[168:169]
	s_delay_alu instid0(VALU_DEP_3) | instskip(SKIP_2) | instid1(VALU_DEP_4)
	v_add_f64 v[160:161], v[138:139], v[120:121]
	v_fma_f64 v[120:121], v[192:193], s[18:19], v[136:137]
	v_fma_f64 v[118:119], v[176:177], s[18:19], -v[182:183]
	v_add_f64 v[0:1], v[0:1], v[116:117]
	v_fma_f64 v[116:117], v[178:179], s[18:19], v[180:181]
	s_delay_alu instid0(VALU_DEP_4) | instskip(SKIP_1) | instid1(VALU_DEP_3)
	v_add_f64 v[162:163], v[120:121], v[126:127]
	v_fma_f64 v[120:121], v[192:193], s[18:19], -v[136:137]
	v_add_f64 v[0:1], v[116:117], v[0:1]
	v_fma_f64 v[116:117], v[186:187], s[20:21], v[188:189]
	s_delay_alu instid0(VALU_DEP_3) | instskip(SKIP_1) | instid1(VALU_DEP_3)
	v_add_f64 v[166:167], v[120:121], v[2:3]
	v_fma_f64 v[2:3], v[150:151], s[16:17], -v[170:171]
	v_add_f64 v[0:1], v[116:117], v[0:1]
	v_fma_f64 v[116:117], v[194:195], s[24:25], v[198:199]
	s_delay_alu instid0(VALU_DEP_3) | instskip(NEXT) | instid1(VALU_DEP_2)
	v_add_f64 v[2:3], v[2:3], v[140:141]
	v_add_f64 v[168:169], v[116:117], v[0:1]
	scratch_load_b32 v0, off, off offset:1028 ; 4-byte Folded Reload
	v_add_f64 v[2:3], v[118:119], v[2:3]
	v_fma_f64 v[118:119], v[184:185], s[20:21], -v[190:191]
	s_delay_alu instid0(VALU_DEP_1) | instskip(SKIP_1) | instid1(VALU_DEP_1)
	v_add_f64 v[2:3], v[118:119], v[2:3]
	v_fma_f64 v[118:119], v[192:193], s[24:25], -v[200:201]
	v_add_f64 v[170:171], v[118:119], v[2:3]
	s_waitcnt vmcnt(0)
	v_lshlrev_b32_e32 v0, 4, v0
	ds_store_b128 v0, v[84:87] offset:17952
	ds_store_b128 v0, v[100:103] offset:18768
	;; [unrolled: 1-line block ×10, first 2 shown]
	scratch_store_b32 off, v0, off offset:1028 ; 4-byte Folded Spill
	ds_store_b128 v0, v[168:171] offset:26112
	v_lshlrev_b32_e32 v0, 5, v244
	s_waitcnt lgkmcnt(0)
	s_waitcnt_vscnt null, 0x0
	s_barrier
	buffer_gl0_inv
	scratch_store_b32 off, v232, off offset:1752 ; 4-byte Folded Spill
	v_add_co_u32 v6, s0, s2, v0
	s_delay_alu instid0(VALU_DEP_1) | instskip(SKIP_2) | instid1(VALU_DEP_1)
	v_add_co_ci_u32_e64 v7, null, s3, 0, s0
	ds_load_b128 v[164:167], v252 offset:8160
	v_add_co_u32 v0, s0, 0x2000, v6
	v_add_co_ci_u32_e64 v1, s0, 0, v7, s0
	global_load_b128 v[8:11], v[0:1], off offset:512
	ds_load_b128 v[0:3], v252 offset:8976
	s_waitcnt vmcnt(0) lgkmcnt(0)
	v_mul_f64 v[4:5], v[2:3], v[10:11]
	scratch_store_b128 off, v[8:11], off offset:1040 ; 16-byte Folded Spill
	v_fma_f64 v[76:77], v[0:1], v[8:9], -v[4:5]
	v_mul_f64 v[0:1], v[0:1], v[10:11]
	s_delay_alu instid0(VALU_DEP_1) | instskip(SKIP_1) | instid1(VALU_DEP_1)
	v_fma_f64 v[78:79], v[2:3], v[8:9], v[0:1]
	v_add_co_u32 v0, s0, 0x2200, v6
	v_add_co_ci_u32_e64 v1, s0, 0, v7, s0
	global_load_b128 v[6:9], v[0:1], off offset:16
	ds_load_b128 v[0:3], v252 offset:17952
	s_waitcnt vmcnt(0) lgkmcnt(0)
	v_mul_f64 v[4:5], v[2:3], v[8:9]
	scratch_store_b128 off, v[6:9], off offset:1092 ; 16-byte Folded Spill
	v_fma_f64 v[80:81], v[0:1], v[6:7], -v[4:5]
	v_mul_f64 v[0:1], v[0:1], v[8:9]
	s_delay_alu instid0(VALU_DEP_2) | instskip(NEXT) | instid1(VALU_DEP_2)
	v_add_f64 v[144:145], v[76:77], v[80:81]
	v_fma_f64 v[82:83], v[2:3], v[6:7], v[0:1]
	v_lshlrev_b32_e32 v0, 5, v232
	s_delay_alu instid0(VALU_DEP_1) | instskip(NEXT) | instid1(VALU_DEP_1)
	v_add_co_u32 v6, s0, s2, v0
	v_add_co_ci_u32_e64 v7, null, s3, 0, s0
	s_delay_alu instid0(VALU_DEP_2) | instskip(NEXT) | instid1(VALU_DEP_1)
	v_add_co_u32 v0, s0, 0x2000, v6
	v_add_co_ci_u32_e64 v1, s0, 0, v7, s0
	global_load_b128 v[8:11], v[0:1], off offset:512
	ds_load_b128 v[0:3], v252 offset:9792
	v_add_f64 v[146:147], v[78:79], v[82:83]
	s_waitcnt vmcnt(0) lgkmcnt(0)
	v_mul_f64 v[4:5], v[2:3], v[10:11]
	scratch_store_b128 off, v[8:11], off offset:1076 ; 16-byte Folded Spill
	v_fma_f64 v[84:85], v[0:1], v[8:9], -v[4:5]
	v_mul_f64 v[0:1], v[0:1], v[10:11]
	s_delay_alu instid0(VALU_DEP_1) | instskip(SKIP_1) | instid1(VALU_DEP_1)
	v_fma_f64 v[86:87], v[2:3], v[8:9], v[0:1]
	v_add_co_u32 v0, s0, 0x2200, v6
	v_add_co_ci_u32_e64 v1, s0, 0, v7, s0
	global_load_b128 v[6:9], v[0:1], off offset:16
	ds_load_b128 v[0:3], v252 offset:18768
	s_waitcnt vmcnt(0) lgkmcnt(0)
	v_mul_f64 v[4:5], v[2:3], v[8:9]
	scratch_store_b128 off, v[6:9], off offset:1112 ; 16-byte Folded Spill
	v_fma_f64 v[88:89], v[0:1], v[6:7], -v[4:5]
	v_mul_f64 v[0:1], v[0:1], v[8:9]
	s_delay_alu instid0(VALU_DEP_1) | instskip(SKIP_3) | instid1(VALU_DEP_1)
	v_fma_f64 v[0:1], v[2:3], v[6:7], v[0:1]
	v_lshlrev_b32_e32 v2, 5, v241
	ds_load_b128 v[4:7], v252 offset:10608
	v_add_co_u32 v8, s0, s2, v2
	v_add_co_ci_u32_e64 v9, null, s3, 0, s0
	s_delay_alu instid0(VALU_DEP_2) | instskip(NEXT) | instid1(VALU_DEP_1)
	v_add_co_u32 v2, s0, 0x2000, v8
	v_add_co_ci_u32_e64 v3, s0, 0, v9, s0
	global_load_b128 v[10:13], v[2:3], off offset:512
	s_waitcnt vmcnt(0) lgkmcnt(0)
	v_mul_f64 v[2:3], v[6:7], v[12:13]
	scratch_store_b128 off, v[10:13], off offset:1128 ; 16-byte Folded Spill
	v_fma_f64 v[2:3], v[4:5], v[10:11], -v[2:3]
	v_mul_f64 v[4:5], v[4:5], v[12:13]
	s_delay_alu instid0(VALU_DEP_1) | instskip(SKIP_1) | instid1(VALU_DEP_1)
	v_fma_f64 v[4:5], v[6:7], v[10:11], v[4:5]
	v_add_co_u32 v6, s0, 0x2200, v8
	v_add_co_ci_u32_e64 v7, s0, 0, v9, s0
	ds_load_b128 v[8:11], v252 offset:19584
	global_load_b128 v[12:15], v[6:7], off offset:16
	s_waitcnt vmcnt(0) lgkmcnt(0)
	v_mul_f64 v[6:7], v[10:11], v[14:15]
	s_delay_alu instid0(VALU_DEP_1) | instskip(SKIP_1) | instid1(VALU_DEP_1)
	v_fma_f64 v[6:7], v[8:9], v[12:13], -v[6:7]
	v_mul_f64 v[8:9], v[8:9], v[14:15]
	v_fma_f64 v[8:9], v[10:11], v[12:13], v[8:9]
	scratch_load_b32 v10, off, off offset:1160 ; 4-byte Folded Reload
	s_waitcnt vmcnt(0)
	v_lshlrev_b32_e32 v10, 5, v10
	s_delay_alu instid0(VALU_DEP_1) | instskip(NEXT) | instid1(VALU_DEP_1)
	v_add_co_u32 v16, s0, s2, v10
	v_add_co_ci_u32_e64 v17, null, s3, 0, s0
	s_delay_alu instid0(VALU_DEP_2) | instskip(NEXT) | instid1(VALU_DEP_1)
	v_add_co_u32 v10, s0, 0x2000, v16
	v_add_co_ci_u32_e64 v11, s0, 0, v17, s0
	global_load_b128 v[18:21], v[10:11], off offset:512
	scratch_store_b128 off, v[12:15], off offset:1144 ; 16-byte Folded Spill
	ds_load_b128 v[12:15], v252 offset:11424
	s_waitcnt vmcnt(0)
	scratch_store_b128 off, v[18:21], off offset:1160 ; 16-byte Folded Spill
	s_waitcnt lgkmcnt(0)
	v_mul_f64 v[10:11], v[14:15], v[20:21]
	s_delay_alu instid0(VALU_DEP_1) | instskip(SKIP_1) | instid1(VALU_DEP_1)
	v_fma_f64 v[10:11], v[12:13], v[18:19], -v[10:11]
	v_mul_f64 v[12:13], v[12:13], v[20:21]
	v_fma_f64 v[12:13], v[14:15], v[18:19], v[12:13]
	v_add_co_u32 v14, s0, 0x2200, v16
	s_delay_alu instid0(VALU_DEP_1) | instskip(SKIP_4) | instid1(VALU_DEP_1)
	v_add_co_ci_u32_e64 v15, s0, 0, v17, s0
	ds_load_b128 v[16:19], v252 offset:20400
	global_load_b128 v[20:23], v[14:15], off offset:16
	s_waitcnt vmcnt(0) lgkmcnt(0)
	v_mul_f64 v[14:15], v[18:19], v[22:23]
	v_fma_f64 v[14:15], v[16:17], v[20:21], -v[14:15]
	v_mul_f64 v[16:17], v[16:17], v[22:23]
	s_delay_alu instid0(VALU_DEP_1) | instskip(SKIP_3) | instid1(VALU_DEP_1)
	v_fma_f64 v[16:17], v[18:19], v[20:21], v[16:17]
	scratch_load_b32 v18, off, off offset:1196 ; 4-byte Folded Reload
	s_waitcnt vmcnt(0)
	v_lshlrev_b32_e32 v18, 5, v18
	v_add_co_u32 v24, s0, s2, v18
	s_delay_alu instid0(VALU_DEP_1) | instskip(NEXT) | instid1(VALU_DEP_2)
	v_add_co_ci_u32_e64 v25, null, s3, 0, s0
	v_add_co_u32 v18, s0, 0x2000, v24
	s_delay_alu instid0(VALU_DEP_1)
	v_add_co_ci_u32_e64 v19, s0, 0, v25, s0
	global_load_b128 v[26:29], v[18:19], off offset:512
	scratch_store_b128 off, v[20:23], off offset:1180 ; 16-byte Folded Spill
	ds_load_b128 v[20:23], v252 offset:12240
	s_waitcnt vmcnt(0)
	scratch_store_b128 off, v[26:29], off offset:1196 ; 16-byte Folded Spill
	s_waitcnt lgkmcnt(0)
	v_mul_f64 v[18:19], v[22:23], v[28:29]
	s_delay_alu instid0(VALU_DEP_1) | instskip(SKIP_1) | instid1(VALU_DEP_1)
	v_fma_f64 v[18:19], v[20:21], v[26:27], -v[18:19]
	v_mul_f64 v[20:21], v[20:21], v[28:29]
	v_fma_f64 v[90:91], v[22:23], v[26:27], v[20:21]
	v_add_co_u32 v20, s0, 0x2200, v24
	s_delay_alu instid0(VALU_DEP_1)
	v_add_co_ci_u32_e64 v21, s0, 0, v25, s0
	global_load_b128 v[26:29], v[20:21], off offset:16
	ds_load_b128 v[20:23], v252 offset:21216
	s_waitcnt vmcnt(0) lgkmcnt(0)
	v_mul_f64 v[24:25], v[22:23], v[28:29]
	scratch_store_b128 off, v[26:29], off offset:1248 ; 16-byte Folded Spill
	v_fma_f64 v[92:93], v[20:21], v[26:27], -v[24:25]
	v_mul_f64 v[20:21], v[20:21], v[28:29]
	s_delay_alu instid0(VALU_DEP_1) | instskip(SKIP_3) | instid1(VALU_DEP_1)
	v_fma_f64 v[94:95], v[22:23], v[26:27], v[20:21]
	scratch_load_b32 v20, off, off offset:1216 ; 4-byte Folded Reload
	s_waitcnt vmcnt(0)
	v_lshlrev_b32_e32 v20, 5, v20
	v_add_co_u32 v26, s0, s2, v20
	s_delay_alu instid0(VALU_DEP_1) | instskip(NEXT) | instid1(VALU_DEP_2)
	v_add_co_ci_u32_e64 v27, null, s3, 0, s0
	v_add_co_u32 v20, s0, 0x2000, v26
	s_delay_alu instid0(VALU_DEP_1) | instskip(SKIP_4) | instid1(VALU_DEP_1)
	v_add_co_ci_u32_e64 v21, s0, 0, v27, s0
	global_load_b128 v[28:31], v[20:21], off offset:512
	ds_load_b128 v[20:23], v252 offset:13056
	s_waitcnt vmcnt(0) lgkmcnt(0)
	v_mul_f64 v[24:25], v[22:23], v[30:31]
	v_fma_f64 v[96:97], v[20:21], v[28:29], -v[24:25]
	v_mul_f64 v[20:21], v[20:21], v[30:31]
	s_delay_alu instid0(VALU_DEP_1) | instskip(SKIP_1) | instid1(VALU_DEP_1)
	v_fma_f64 v[98:99], v[22:23], v[28:29], v[20:21]
	v_add_co_u32 v20, s0, 0x2200, v26
	v_add_co_ci_u32_e64 v21, s0, 0, v27, s0
	ds_load_b128 v[24:27], v252 offset:22032
	global_load_b128 v[20:23], v[20:21], off offset:16
	scratch_store_b128 off, v[28:31], off offset:1380 ; 16-byte Folded Spill
	s_waitcnt vmcnt(0)
	scratch_store_b128 off, v[20:23], off offset:1216 ; 16-byte Folded Spill
	s_waitcnt lgkmcnt(0)
	v_mul_f64 v[32:33], v[26:27], v[22:23]
	s_delay_alu instid0(VALU_DEP_1) | instskip(SKIP_4) | instid1(VALU_DEP_1)
	v_fma_f64 v[100:101], v[24:25], v[20:21], -v[32:33]
	v_mul_f64 v[24:25], v[24:25], v[22:23]
	ds_load_b128 v[32:35], v252 offset:13872
	v_fma_f64 v[102:103], v[26:27], v[20:21], v[24:25]
	v_lshlrev_b32_e32 v20, 5, v248
	v_add_co_u32 v20, s0, s2, v20
	s_delay_alu instid0(VALU_DEP_1) | instskip(NEXT) | instid1(VALU_DEP_2)
	v_add_co_ci_u32_e64 v21, null, s3, 0, s0
	v_add_co_u32 v24, s0, 0x2000, v20
	s_delay_alu instid0(VALU_DEP_1)
	v_add_co_ci_u32_e64 v25, s0, 0, v21, s0
	global_load_b128 v[22:25], v[24:25], off offset:512
	s_waitcnt vmcnt(0) lgkmcnt(0)
	v_mul_f64 v[36:37], v[34:35], v[24:25]
	scratch_store_b128 off, v[22:25], off offset:1232 ; 16-byte Folded Spill
	v_fma_f64 v[104:105], v[32:33], v[22:23], -v[36:37]
	v_mul_f64 v[32:33], v[32:33], v[24:25]
	s_delay_alu instid0(VALU_DEP_1) | instskip(SKIP_1) | instid1(VALU_DEP_1)
	v_fma_f64 v[106:107], v[34:35], v[22:23], v[32:33]
	v_add_co_u32 v32, s0, 0x2200, v20
	v_add_co_ci_u32_e64 v33, s0, 0, v21, s0
	global_load_b128 v[20:23], v[32:33], off offset:16
	ds_load_b128 v[32:35], v252 offset:22848
	s_waitcnt vmcnt(0) lgkmcnt(0)
	v_mul_f64 v[40:41], v[34:35], v[22:23]
	scratch_store_b128 off, v[20:23], off offset:1280 ; 16-byte Folded Spill
	v_fma_f64 v[108:109], v[32:33], v[20:21], -v[40:41]
	v_mul_f64 v[32:33], v[32:33], v[22:23]
	ds_load_b128 v[40:43], v252 offset:14688
	v_fma_f64 v[110:111], v[34:35], v[20:21], v[32:33]
	v_lshlrev_b32_e32 v20, 5, v247
	s_delay_alu instid0(VALU_DEP_1) | instskip(NEXT) | instid1(VALU_DEP_1)
	v_add_co_u32 v20, s0, s2, v20
	v_add_co_ci_u32_e64 v21, null, s3, 0, s0
	s_delay_alu instid0(VALU_DEP_2) | instskip(NEXT) | instid1(VALU_DEP_1)
	v_add_co_u32 v32, s0, 0x2000, v20
	v_add_co_ci_u32_e64 v33, s0, 0, v21, s0
	global_load_b128 v[22:25], v[32:33], off offset:512
	s_waitcnt vmcnt(0) lgkmcnt(0)
	v_mul_f64 v[44:45], v[42:43], v[24:25]
	scratch_store_b128 off, v[22:25], off offset:1264 ; 16-byte Folded Spill
	v_fma_f64 v[112:113], v[40:41], v[22:23], -v[44:45]
	v_mul_f64 v[40:41], v[40:41], v[24:25]
	s_delay_alu instid0(VALU_DEP_1) | instskip(SKIP_1) | instid1(VALU_DEP_1)
	v_fma_f64 v[114:115], v[42:43], v[22:23], v[40:41]
	v_add_co_u32 v40, s0, 0x2200, v20
	v_add_co_ci_u32_e64 v41, s0, 0, v21, s0
	global_load_b128 v[20:23], v[40:41], off offset:16
	ds_load_b128 v[40:43], v252 offset:23664
	s_waitcnt vmcnt(0) lgkmcnt(0)
	v_mul_f64 v[48:49], v[42:43], v[22:23]
	scratch_store_b128 off, v[20:23], off offset:1312 ; 16-byte Folded Spill
	v_fma_f64 v[116:117], v[40:41], v[20:21], -v[48:49]
	v_mul_f64 v[40:41], v[40:41], v[22:23]
	s_delay_alu instid0(VALU_DEP_1) | instskip(SKIP_1) | instid1(VALU_DEP_1)
	v_fma_f64 v[118:119], v[42:43], v[20:21], v[40:41]
	v_lshlrev_b32_e32 v20, 5, v240
	v_add_co_u32 v20, s0, s2, v20
	s_delay_alu instid0(VALU_DEP_1) | instskip(NEXT) | instid1(VALU_DEP_2)
	v_add_co_ci_u32_e64 v21, null, s3, 0, s0
	v_add_co_u32 v40, s0, 0x2000, v20
	s_delay_alu instid0(VALU_DEP_1)
	v_add_co_ci_u32_e64 v41, s0, 0, v21, s0
	global_load_b128 v[22:25], v[40:41], off offset:512
	ds_load_b128 v[40:43], v252 offset:15504
	s_waitcnt vmcnt(0) lgkmcnt(0)
	v_mul_f64 v[52:53], v[42:43], v[24:25]
	scratch_store_b128 off, v[22:25], off offset:1328 ; 16-byte Folded Spill
	v_fma_f64 v[120:121], v[40:41], v[22:23], -v[52:53]
	v_mul_f64 v[40:41], v[40:41], v[24:25]
	s_delay_alu instid0(VALU_DEP_1) | instskip(SKIP_1) | instid1(VALU_DEP_1)
	v_fma_f64 v[122:123], v[42:43], v[22:23], v[40:41]
	v_add_co_u32 v40, s0, 0x2200, v20
	v_add_co_ci_u32_e64 v41, s0, 0, v21, s0
	global_load_b128 v[20:23], v[40:41], off offset:16
	ds_load_b128 v[40:43], v252 offset:24480
	s_waitcnt vmcnt(0) lgkmcnt(0)
	v_mul_f64 v[56:57], v[42:43], v[22:23]
	scratch_store_b128 off, v[20:23], off offset:1344 ; 16-byte Folded Spill
	v_fma_f64 v[124:125], v[40:41], v[20:21], -v[56:57]
	v_mul_f64 v[40:41], v[40:41], v[22:23]
	ds_load_b128 v[56:59], v252 offset:16320
	v_fma_f64 v[126:127], v[42:43], v[20:21], v[40:41]
	v_lshlrev_b32_e32 v20, 5, v233
	s_delay_alu instid0(VALU_DEP_1) | instskip(NEXT) | instid1(VALU_DEP_1)
	v_add_co_u32 v20, s0, s2, v20
	v_add_co_ci_u32_e64 v21, null, s3, 0, s0
	s_delay_alu instid0(VALU_DEP_2) | instskip(NEXT) | instid1(VALU_DEP_1)
	v_add_co_u32 v40, s0, 0x2000, v20
	v_add_co_ci_u32_e64 v41, s0, 0, v21, s0
	global_load_b128 v[22:25], v[40:41], off offset:512
	s_waitcnt vmcnt(0) lgkmcnt(0)
	v_mul_f64 v[64:65], v[58:59], v[24:25]
	scratch_store_b128 off, v[22:25], off offset:1296 ; 16-byte Folded Spill
	v_fma_f64 v[128:129], v[56:57], v[22:23], -v[64:65]
	v_mul_f64 v[56:57], v[56:57], v[24:25]
	ds_load_b128 v[64:67], v252 offset:25296
	v_fma_f64 v[130:131], v[58:59], v[22:23], v[56:57]
	v_add_co_u32 v56, s0, 0x2200, v20
	s_delay_alu instid0(VALU_DEP_1)
	v_add_co_ci_u32_e64 v57, s0, 0, v21, s0
	global_load_b128 v[20:23], v[56:57], off offset:16
	s_waitcnt vmcnt(0) lgkmcnt(0)
	v_mul_f64 v[68:69], v[66:67], v[22:23]
	scratch_store_b128 off, v[20:23], off offset:1364 ; 16-byte Folded Spill
	v_fma_f64 v[132:133], v[64:65], v[20:21], -v[68:69]
	v_mul_f64 v[64:65], v[64:65], v[22:23]
	ds_load_b128 v[68:71], v252 offset:17136
	v_fma_f64 v[134:135], v[66:67], v[20:21], v[64:65]
	v_lshlrev_b32_e32 v20, 5, v249
	s_delay_alu instid0(VALU_DEP_1) | instskip(NEXT) | instid1(VALU_DEP_1)
	v_add_co_u32 v20, s0, s2, v20
	v_add_co_ci_u32_e64 v21, null, s3, 0, s0
	s_add_u32 s2, s12, 0x6930
	s_delay_alu instid0(VALU_DEP_2) | instskip(NEXT) | instid1(VALU_DEP_1)
	v_add_co_u32 v64, s0, 0x2000, v20
	v_add_co_ci_u32_e64 v65, s0, 0, v21, s0
	s_addc_u32 s3, s13, 0
	global_load_b128 v[22:25], v[64:65], off offset:512
	s_waitcnt vmcnt(0) lgkmcnt(0)
	v_mul_f64 v[72:73], v[70:71], v[24:25]
	scratch_store_b128 off, v[22:25], off offset:1396 ; 16-byte Folded Spill
	v_fma_f64 v[136:137], v[68:69], v[22:23], -v[72:73]
	v_mul_f64 v[68:69], v[68:69], v[24:25]
	ds_load_b128 v[72:75], v252 offset:26112
	v_fma_f64 v[138:139], v[70:71], v[22:23], v[68:69]
	v_add_co_u32 v68, s0, 0x2200, v20
	s_delay_alu instid0(VALU_DEP_1)
	v_add_co_ci_u32_e64 v69, s0, 0, v21, s0
	global_load_b128 v[20:23], v[68:69], off offset:16
	s_waitcnt vmcnt(0) lgkmcnt(0)
	v_mul_f64 v[140:141], v[74:75], v[22:23]
	scratch_store_b128 off, v[20:23], off offset:1412 ; 16-byte Folded Spill
	v_fma_f64 v[140:141], v[72:73], v[20:21], -v[140:141]
	v_mul_f64 v[72:73], v[72:73], v[22:23]
	s_delay_alu instid0(VALU_DEP_1)
	v_fma_f64 v[142:143], v[74:75], v[20:21], v[72:73]
	ds_load_b128 v[72:75], v252
	s_waitcnt lgkmcnt(0)
	v_fma_f64 v[144:145], v[144:145], -0.5, v[72:73]
	v_add_f64 v[72:73], v[72:73], v[76:77]
	v_fma_f64 v[146:147], v[146:147], -0.5, v[74:75]
	v_add_f64 v[74:75], v[74:75], v[78:79]
	v_add_f64 v[78:79], v[78:79], -v[82:83]
	s_delay_alu instid0(VALU_DEP_4) | instskip(SKIP_1) | instid1(VALU_DEP_4)
	v_add_f64 v[176:177], v[72:73], v[80:81]
	v_add_f64 v[72:73], v[76:77], -v[80:81]
	v_add_f64 v[178:179], v[74:75], v[82:83]
	s_delay_alu instid0(VALU_DEP_4)
	v_fma_f64 v[180:181], v[78:79], s[8:9], v[144:145]
	v_fma_f64 v[184:185], v[78:79], s[14:15], v[144:145]
	v_add_f64 v[78:79], v[86:87], v[0:1]
	v_add_f64 v[76:77], v[84:85], v[88:89]
	v_add_f64 v[80:81], v[86:87], -v[0:1]
	v_fma_f64 v[182:183], v[72:73], s[14:15], v[146:147]
	v_fma_f64 v[186:187], v[72:73], s[8:9], v[146:147]
	ds_load_b128 v[72:75], v252 offset:816
	s_waitcnt lgkmcnt(0)
	v_fma_f64 v[78:79], v[78:79], -0.5, v[74:75]
	v_add_f64 v[74:75], v[74:75], v[86:87]
	v_fma_f64 v[76:77], v[76:77], -0.5, v[72:73]
	v_add_f64 v[72:73], v[72:73], v[84:85]
	s_delay_alu instid0(VALU_DEP_3) | instskip(SKIP_1) | instid1(VALU_DEP_4)
	v_add_f64 v[190:191], v[74:75], v[0:1]
	v_add_f64 v[0:1], v[84:85], -v[88:89]
	v_fma_f64 v[192:193], v[80:81], s[8:9], v[76:77]
	v_fma_f64 v[196:197], v[80:81], s[14:15], v[76:77]
	v_add_f64 v[76:77], v[4:5], v[8:9]
	v_add_f64 v[188:189], v[72:73], v[88:89]
	ds_load_b128 v[72:75], v252 offset:1632
	v_fma_f64 v[194:195], v[0:1], s[14:15], v[78:79]
	v_fma_f64 v[198:199], v[0:1], s[8:9], v[78:79]
	v_add_f64 v[0:1], v[2:3], v[6:7]
	s_waitcnt lgkmcnt(0)
	v_fma_f64 v[76:77], v[76:77], -0.5, v[74:75]
	v_add_f64 v[74:75], v[74:75], v[4:5]
	v_add_f64 v[4:5], v[4:5], -v[8:9]
	s_delay_alu instid0(VALU_DEP_4)
	v_fma_f64 v[0:1], v[0:1], -0.5, v[72:73]
	v_add_f64 v[72:73], v[72:73], v[2:3]
	v_add_f64 v[2:3], v[2:3], -v[6:7]
	v_add_f64 v[202:203], v[74:75], v[8:9]
	v_add_f64 v[8:9], v[12:13], -v[16:17]
	v_fma_f64 v[204:205], v[4:5], s[8:9], v[0:1]
	v_add_f64 v[200:201], v[72:73], v[6:7]
	ds_load_b128 v[72:75], v252 offset:2448
	v_fma_f64 v[208:209], v[4:5], s[14:15], v[0:1]
	v_fma_f64 v[206:207], v[2:3], s[14:15], v[76:77]
	;; [unrolled: 1-line block ×3, first 2 shown]
	ds_load_b128 v[76:79], v252 offset:4896
	v_add_f64 v[0:1], v[10:11], v[14:15]
	v_add_f64 v[2:3], v[12:13], v[16:17]
	s_waitcnt lgkmcnt(1)
	v_add_f64 v[4:5], v[74:75], v[12:13]
	v_add_f64 v[6:7], v[72:73], v[10:11]
	s_delay_alu instid0(VALU_DEP_4) | instskip(NEXT) | instid1(VALU_DEP_4)
	v_fma_f64 v[0:1], v[0:1], -0.5, v[72:73]
	v_fma_f64 v[2:3], v[2:3], -0.5, v[74:75]
	ds_load_b128 v[72:75], v252 offset:3264
	v_add_f64 v[214:215], v[4:5], v[16:17]
	v_add_f64 v[4:5], v[10:11], -v[14:15]
	v_add_f64 v[212:213], v[6:7], v[14:15]
	s_waitcnt lgkmcnt(0)
	v_add_f64 v[6:7], v[72:73], v[18:19]
	v_fma_f64 v[216:217], v[8:9], s[8:9], v[0:1]
	v_fma_f64 v[220:221], v[8:9], s[14:15], v[0:1]
	v_add_f64 v[0:1], v[18:19], v[92:93]
	v_add_f64 v[8:9], v[90:91], -v[94:95]
	v_fma_f64 v[218:219], v[4:5], s[14:15], v[2:3]
	v_fma_f64 v[222:223], v[4:5], s[8:9], v[2:3]
	v_add_f64 v[2:3], v[90:91], v[94:95]
	v_add_f64 v[4:5], v[74:75], v[90:91]
	ds_load_b128 v[88:91], v252 offset:5712
	v_add_f64 v[224:225], v[6:7], v[92:93]
	v_fma_f64 v[0:1], v[0:1], -0.5, v[72:73]
	v_fma_f64 v[2:3], v[2:3], -0.5, v[74:75]
	v_add_f64 v[226:227], v[4:5], v[94:95]
	v_add_f64 v[4:5], v[18:19], -v[92:93]
	ds_load_b128 v[72:75], v252 offset:4080
	v_fma_f64 v[228:229], v[8:9], s[8:9], v[0:1]
	v_fma_f64 v[232:233], v[8:9], s[14:15], v[0:1]
	v_add_f64 v[0:1], v[96:97], v[100:101]
	v_add_f64 v[8:9], v[98:99], -v[102:103]
	s_waitcnt lgkmcnt(0)
	v_add_f64 v[6:7], v[72:73], v[96:97]
	v_fma_f64 v[230:231], v[4:5], s[14:15], v[2:3]
	v_fma_f64 v[234:235], v[4:5], s[8:9], v[2:3]
	v_add_f64 v[2:3], v[98:99], v[102:103]
	v_add_f64 v[4:5], v[74:75], v[98:99]
	v_fma_f64 v[0:1], v[0:1], -0.5, v[72:73]
	v_add_f64 v[236:237], v[6:7], v[100:101]
	v_add_f64 v[6:7], v[76:77], v[104:105]
	v_fma_f64 v[2:3], v[2:3], -0.5, v[74:75]
	v_add_f64 v[238:239], v[4:5], v[102:103]
	v_add_f64 v[4:5], v[96:97], -v[100:101]
	ds_load_b128 v[100:103], v252 offset:6528
	v_fma_f64 v[240:241], v[8:9], s[8:9], v[0:1]
	v_fma_f64 v[10:11], v[8:9], s[14:15], v[0:1]
	v_add_f64 v[0:1], v[104:105], v[108:109]
	v_add_f64 v[8:9], v[106:107], -v[110:111]
	v_add_f64 v[14:15], v[6:7], v[108:109]
	v_add_f64 v[6:7], v[88:89], v[112:113]
	v_fma_f64 v[242:243], v[4:5], s[14:15], v[2:3]
	v_fma_f64 v[12:13], v[4:5], s[8:9], v[2:3]
	v_add_f64 v[2:3], v[106:107], v[110:111]
	v_add_f64 v[4:5], v[78:79], v[106:107]
	v_fma_f64 v[0:1], v[0:1], -0.5, v[76:77]
	v_add_f64 v[26:27], v[6:7], v[116:117]
	s_delay_alu instid0(VALU_DEP_4) | instskip(NEXT) | instid1(VALU_DEP_4)
	v_fma_f64 v[2:3], v[2:3], -0.5, v[78:79]
	v_add_f64 v[16:17], v[4:5], v[110:111]
	v_add_f64 v[4:5], v[104:105], -v[108:109]
	ds_load_b128 v[108:111], v252 offset:7344
	s_waitcnt lgkmcnt(1)
	v_add_f64 v[6:7], v[100:101], v[120:121]
	ds_store_b128 v252, v[180:183] offset:8976
	ds_store_b128 v252, v[176:179]
	ds_store_b128 v252, v[188:191] offset:816
	ds_store_b128 v252, v[184:187] offset:17952
	ds_store_b128 v252, v[196:199] offset:18768
	ds_store_b128 v252, v[192:195] offset:9792
	ds_store_b128 v252, v[204:207] offset:10608
	ds_store_b128 v252, v[200:203] offset:1632
	ds_store_b128 v252, v[212:215] offset:2448
	ds_store_b128 v252, v[208:211] offset:19584
	ds_store_b128 v252, v[220:223] offset:20400
	ds_store_b128 v252, v[216:219] offset:11424
	ds_store_b128 v252, v[228:231] offset:12240
	ds_store_b128 v252, v[224:227] offset:3264
	ds_store_b128 v252, v[236:239] offset:4080
	ds_store_b128 v252, v[240:243] offset:13056
	ds_store_b128 v252, v[232:235] offset:21216
	scratch_store_b128 off, v[10:13], off offset:1428 ; 16-byte Folded Spill
	v_fma_f64 v[18:19], v[8:9], s[8:9], v[0:1]
	v_fma_f64 v[22:23], v[8:9], s[14:15], v[0:1]
	v_add_f64 v[0:1], v[112:113], v[116:117]
	v_add_f64 v[8:9], v[114:115], -v[118:119]
	scratch_store_b128 off, v[14:17], off offset:1444 ; 16-byte Folded Spill
	v_fma_f64 v[20:21], v[4:5], s[14:15], v[2:3]
	v_fma_f64 v[24:25], v[4:5], s[8:9], v[2:3]
	v_add_f64 v[2:3], v[114:115], v[118:119]
	v_add_f64 v[4:5], v[90:91], v[114:115]
	;; [unrolled: 1-line block ×3, first 2 shown]
	s_waitcnt lgkmcnt(17)
	v_add_f64 v[6:7], v[108:109], v[128:129]
	ds_store_b128 v252, v[10:13] offset:22032
	v_fma_f64 v[0:1], v[0:1], -0.5, v[88:89]
	s_clause 0x1
	scratch_store_b128 off, v[18:21], off offset:1460
	scratch_store_b128 off, v[22:25], off offset:1476
	v_fma_f64 v[2:3], v[2:3], -0.5, v[90:91]
	v_add_f64 v[28:29], v[4:5], v[118:119]
	v_add_f64 v[4:5], v[112:113], -v[116:117]
	v_add_f64 v[46:47], v[6:7], v[132:133]
	v_add_f64 v[6:7], v[164:165], v[136:137]
	ds_store_b128 v252, v[14:17] offset:4896
	ds_store_b128 v252, v[22:25] offset:22848
	v_fma_f64 v[30:31], v[8:9], s[8:9], v[0:1]
	v_fma_f64 v[34:35], v[8:9], s[14:15], v[0:1]
	v_add_f64 v[0:1], v[120:121], v[124:125]
	v_add_f64 v[8:9], v[122:123], -v[126:127]
	ds_store_b128 v252, v[26:29] offset:5712
	v_fma_f64 v[32:33], v[4:5], s[14:15], v[2:3]
	v_fma_f64 v[36:37], v[4:5], s[8:9], v[2:3]
	v_add_f64 v[2:3], v[122:123], v[126:127]
	v_add_f64 v[4:5], v[102:103], v[122:123]
	;; [unrolled: 1-line block ×3, first 2 shown]
	scratch_store_b128 off, v[26:29], off offset:1492 ; 16-byte Folded Spill
	v_fma_f64 v[0:1], v[0:1], -0.5, v[100:101]
	scratch_store_b128 off, v[30:33], off offset:1508 ; 16-byte Folded Spill
	v_fma_f64 v[2:3], v[2:3], -0.5, v[102:103]
	v_add_f64 v[40:41], v[4:5], v[126:127]
	v_add_f64 v[4:5], v[120:121], -v[124:125]
	scratch_store_b128 off, v[34:37], off offset:1524 ; 16-byte Folded Spill
	v_fma_f64 v[42:43], v[8:9], s[8:9], v[0:1]
	v_fma_f64 v[50:51], v[8:9], s[14:15], v[0:1]
	v_add_f64 v[0:1], v[128:129], v[132:133]
	v_add_f64 v[8:9], v[130:131], -v[134:135]
	scratch_store_b128 off, v[38:41], off offset:1540 ; 16-byte Folded Spill
	v_fma_f64 v[44:45], v[4:5], s[14:15], v[2:3]
	v_fma_f64 v[52:53], v[4:5], s[8:9], v[2:3]
	v_add_f64 v[2:3], v[130:131], v[134:135]
	v_add_f64 v[4:5], v[110:111], v[130:131]
	ds_store_b128 v252, v[34:37] offset:23664
	ds_store_b128 v252, v[30:33] offset:14688
	v_fma_f64 v[0:1], v[0:1], -0.5, v[108:109]
	ds_store_b128 v252, v[42:45] offset:15504
	ds_store_b128 v252, v[50:53] offset:24480
	v_fma_f64 v[2:3], v[2:3], -0.5, v[110:111]
	v_add_f64 v[48:49], v[4:5], v[134:135]
	v_add_f64 v[4:5], v[128:129], -v[132:133]
	scratch_store_b128 off, v[42:45], off offset:1556 ; 16-byte Folded Spill
	ds_store_b128 v252, v[38:41] offset:6528
	v_fma_f64 v[54:55], v[8:9], s[8:9], v[0:1]
	v_fma_f64 v[58:59], v[8:9], s[14:15], v[0:1]
	v_add_f64 v[0:1], v[136:137], v[140:141]
	v_add_f64 v[8:9], v[138:139], -v[142:143]
	ds_store_b128 v252, v[46:49] offset:7344
	v_fma_f64 v[56:57], v[4:5], s[14:15], v[2:3]
	v_fma_f64 v[60:61], v[4:5], s[8:9], v[2:3]
	v_add_f64 v[2:3], v[138:139], v[142:143]
	v_add_f64 v[4:5], v[166:167], v[138:139]
	s_clause 0x1
	scratch_store_b128 off, v[46:49], off offset:1572
	scratch_store_b128 off, v[50:53], off offset:1588
	v_fma_f64 v[0:1], v[0:1], -0.5, v[164:165]
	scratch_store_b128 off, v[54:57], off offset:1604 ; 16-byte Folded Spill
	v_fma_f64 v[2:3], v[2:3], -0.5, v[166:167]
	v_add_f64 v[64:65], v[4:5], v[142:143]
	v_add_f64 v[4:5], v[136:137], -v[140:141]
	ds_store_b128 v252, v[18:21] offset:13872
	scratch_store_b128 off, v[58:61], off offset:1620 ; 16-byte Folded Spill
	v_fma_f64 v[6:7], v[8:9], s[8:9], v[0:1]
	v_fma_f64 v[0:1], v[8:9], s[14:15], v[0:1]
	scratch_store_b128 off, v[62:65], off offset:1636 ; 16-byte Folded Spill
	v_fma_f64 v[8:9], v[4:5], s[14:15], v[2:3]
	v_fma_f64 v[2:3], v[4:5], s[8:9], v[2:3]
	v_lshlrev_b32_e32 v4, 4, v244
	ds_store_b128 v252, v[58:61] offset:25296
	ds_store_b128 v252, v[62:65] offset:8160
	ds_store_b128 v252, v[54:57] offset:16320
	v_add_co_u32 v198, s0, s2, v4
	s_delay_alu instid0(VALU_DEP_1)
	v_add_co_ci_u32_e64 v199, null, s3, 0, s0
	ds_store_b128 v252, v[6:9] offset:17136
	s_clause 0x1
	scratch_store_b128 off, v[6:9], off offset:1652
	scratch_store_b128 off, v[0:3], off offset:1668
	ds_store_b128 v252, v[0:3] offset:26112
	s_waitcnt lgkmcnt(0)
	s_waitcnt_vscnt null, 0x0
	s_barrier
	buffer_gl0_inv
	global_load_b128 v[178:181], v4, s[2:3]
	ds_load_b128 v[182:185], v252
	ds_load_b128 v[186:189], v252 offset:1584
	ds_load_b128 v[190:193], v252 offset:3168
	;; [unrolled: 1-line block ×10, first 2 shown]
	s_waitcnt vmcnt(0) lgkmcnt(10)
	v_mul_f64 v[0:1], v[184:185], v[180:181]
	v_mul_f64 v[2:3], v[182:183], v[180:181]
	s_delay_alu instid0(VALU_DEP_2) | instskip(NEXT) | instid1(VALU_DEP_2)
	v_fma_f64 v[176:177], v[182:183], v[178:179], -v[0:1]
	v_fma_f64 v[178:179], v[184:185], v[178:179], v[2:3]
	global_load_b128 v[182:185], v4, s[2:3] offset:1584
	s_waitcnt vmcnt(0) lgkmcnt(9)
	v_mul_f64 v[0:1], v[188:189], v[184:185]
	v_mul_f64 v[2:3], v[186:187], v[184:185]
	s_delay_alu instid0(VALU_DEP_2) | instskip(NEXT) | instid1(VALU_DEP_2)
	v_fma_f64 v[180:181], v[186:187], v[182:183], -v[0:1]
	v_fma_f64 v[182:183], v[188:189], v[182:183], v[2:3]
	global_load_b128 v[186:189], v4, s[2:3] offset:3168
	s_waitcnt vmcnt(0) lgkmcnt(8)
	v_mul_f64 v[0:1], v[192:193], v[188:189]
	v_mul_f64 v[2:3], v[190:191], v[188:189]
	v_add_co_u32 v188, s0, 0x1000, v198
	s_delay_alu instid0(VALU_DEP_1) | instskip(NEXT) | instid1(VALU_DEP_4)
	v_add_co_ci_u32_e64 v189, s0, 0, v199, s0
	v_fma_f64 v[184:185], v[190:191], v[186:187], -v[0:1]
	s_delay_alu instid0(VALU_DEP_4) | instskip(SKIP_4) | instid1(VALU_DEP_2)
	v_fma_f64 v[186:187], v[192:193], v[186:187], v[2:3]
	global_load_b128 v[190:193], v[188:189], off offset:656
	s_waitcnt vmcnt(0) lgkmcnt(7)
	v_mul_f64 v[0:1], v[196:197], v[192:193]
	v_mul_f64 v[2:3], v[194:195], v[192:193]
	v_fma_f64 v[202:203], v[194:195], v[190:191], -v[0:1]
	s_delay_alu instid0(VALU_DEP_2)
	v_fma_f64 v[204:205], v[196:197], v[190:191], v[2:3]
	global_load_b128 v[190:193], v[188:189], off offset:2240
	ds_load_b128 v[194:197], v252 offset:6336
	s_waitcnt vmcnt(0) lgkmcnt(0)
	v_mul_f64 v[0:1], v[196:197], v[192:193]
	v_mul_f64 v[2:3], v[194:195], v[192:193]
	s_delay_alu instid0(VALU_DEP_2) | instskip(NEXT) | instid1(VALU_DEP_2)
	v_fma_f64 v[206:207], v[194:195], v[190:191], -v[0:1]
	v_fma_f64 v[208:209], v[196:197], v[190:191], v[2:3]
	global_load_b128 v[190:193], v[188:189], off offset:3824
	ds_load_b128 v[194:197], v252 offset:7920
	s_waitcnt vmcnt(0) lgkmcnt(0)
	v_mul_f64 v[0:1], v[196:197], v[192:193]
	v_mul_f64 v[2:3], v[194:195], v[192:193]
	s_delay_alu instid0(VALU_DEP_2) | instskip(NEXT) | instid1(VALU_DEP_2)
	v_fma_f64 v[210:211], v[194:195], v[190:191], -v[0:1]
	v_fma_f64 v[212:213], v[196:197], v[190:191], v[2:3]
	v_add_co_u32 v190, s0, 0x2000, v198
	s_delay_alu instid0(VALU_DEP_1) | instskip(SKIP_4) | instid1(VALU_DEP_2)
	v_add_co_ci_u32_e64 v191, s0, 0, v199, s0
	global_load_b128 v[192:195], v[190:191], off offset:1312
	s_waitcnt vmcnt(0)
	v_mul_f64 v[0:1], v[216:217], v[194:195]
	v_mul_f64 v[2:3], v[214:215], v[194:195]
	v_fma_f64 v[214:215], v[214:215], v[192:193], -v[0:1]
	s_delay_alu instid0(VALU_DEP_2) | instskip(SKIP_4) | instid1(VALU_DEP_2)
	v_fma_f64 v[216:217], v[216:217], v[192:193], v[2:3]
	global_load_b128 v[192:195], v[190:191], off offset:2896
	s_waitcnt vmcnt(0)
	v_mul_f64 v[0:1], v[220:221], v[194:195]
	v_mul_f64 v[2:3], v[218:219], v[194:195]
	v_fma_f64 v[218:219], v[218:219], v[192:193], -v[0:1]
	s_delay_alu instid0(VALU_DEP_2) | instskip(SKIP_1) | instid1(VALU_DEP_1)
	v_fma_f64 v[220:221], v[220:221], v[192:193], v[2:3]
	v_add_co_u32 v192, s0, 0x3000, v198
	v_add_co_ci_u32_e64 v193, s0, 0, v199, s0
	global_load_b128 v[194:197], v[192:193], off offset:384
	s_waitcnt vmcnt(0)
	v_mul_f64 v[0:1], v[224:225], v[196:197]
	v_mul_f64 v[2:3], v[222:223], v[196:197]
	s_delay_alu instid0(VALU_DEP_2) | instskip(NEXT) | instid1(VALU_DEP_2)
	v_fma_f64 v[222:223], v[222:223], v[194:195], -v[0:1]
	v_fma_f64 v[224:225], v[224:225], v[194:195], v[2:3]
	global_load_b128 v[194:197], v[192:193], off offset:1968
	s_waitcnt vmcnt(0)
	v_mul_f64 v[0:1], v[228:229], v[196:197]
	v_mul_f64 v[2:3], v[226:227], v[196:197]
	s_delay_alu instid0(VALU_DEP_2) | instskip(NEXT) | instid1(VALU_DEP_2)
	v_fma_f64 v[226:227], v[226:227], v[194:195], -v[0:1]
	v_fma_f64 v[228:229], v[228:229], v[194:195], v[2:3]
	global_load_b128 v[194:197], v[192:193], off offset:3552
	s_waitcnt vmcnt(0)
	v_mul_f64 v[0:1], v[232:233], v[196:197]
	v_mul_f64 v[2:3], v[230:231], v[196:197]
	v_add_co_u32 v196, s0, 0x4000, v198
	s_delay_alu instid0(VALU_DEP_1) | instskip(SKIP_4) | instid1(VALU_DEP_1)
	v_add_co_ci_u32_e64 v197, s0, 0, v199, s0
	global_load_b128 v[234:237], v[196:197], off offset:1040
	v_fma_f64 v[230:231], v[230:231], v[194:195], -v[0:1]
	v_fma_f64 v[232:233], v[232:233], v[194:195], v[2:3]
	v_add_co_u32 v194, s0, 0x5000, v198
	v_add_co_ci_u32_e64 v195, s0, 0, v199, s0
	v_add_co_u32 v200, s0, 0x6000, v198
	s_delay_alu instid0(VALU_DEP_1) | instskip(SKIP_3) | instid1(VALU_DEP_2)
	v_add_co_ci_u32_e64 v201, s0, 0, v199, s0
	s_waitcnt vmcnt(0)
	v_mul_f64 v[0:1], v[240:241], v[236:237]
	v_mul_f64 v[2:3], v[238:239], v[236:237]
	v_fma_f64 v[236:237], v[238:239], v[234:235], -v[0:1]
	s_delay_alu instid0(VALU_DEP_2) | instskip(SKIP_4) | instid1(VALU_DEP_2)
	v_fma_f64 v[238:239], v[240:241], v[234:235], v[2:3]
	global_load_b128 v[240:243], v[196:197], off offset:2624
	s_waitcnt vmcnt(0)
	v_mul_f64 v[0:1], v[246:247], v[242:243]
	v_mul_f64 v[2:3], v[244:245], v[242:243]
	v_fma_f64 v[242:243], v[244:245], v[240:241], -v[0:1]
	s_delay_alu instid0(VALU_DEP_2)
	v_fma_f64 v[244:245], v[246:247], v[240:241], v[2:3]
	global_load_b128 v[246:249], v[194:195], off offset:112
	ds_load_b128 v[0:3], v252 offset:20592
	s_waitcnt vmcnt(0) lgkmcnt(0)
	v_mul_f64 v[4:5], v[2:3], v[248:249]
	v_mul_f64 v[6:7], v[0:1], v[248:249]
	s_delay_alu instid0(VALU_DEP_2) | instskip(NEXT) | instid1(VALU_DEP_2)
	v_fma_f64 v[0:1], v[0:1], v[246:247], -v[4:5]
	v_fma_f64 v[2:3], v[2:3], v[246:247], v[6:7]
	global_load_b128 v[246:249], v[194:195], off offset:1696
	ds_load_b128 v[4:7], v252 offset:22176
	s_waitcnt vmcnt(0) lgkmcnt(0)
	v_mul_f64 v[8:9], v[6:7], v[248:249]
	v_mul_f64 v[10:11], v[4:5], v[248:249]
	s_delay_alu instid0(VALU_DEP_2) | instskip(NEXT) | instid1(VALU_DEP_2)
	v_fma_f64 v[4:5], v[4:5], v[246:247], -v[8:9]
	;; [unrolled: 8-line block ×4, first 2 shown]
	v_fma_f64 v[14:15], v[14:15], v[246:247], v[18:19]
	ds_store_b128 v252, v[176:179]
	ds_store_b128 v252, v[180:183] offset:1584
	ds_store_b128 v252, v[184:187] offset:3168
	;; [unrolled: 1-line block ×16, first 2 shown]
	s_and_saveexec_b32 s0, vcc_lo
	s_cbranch_execz .LBB0_9
; %bb.8:
	s_clause 0xd
	global_load_b128 v[176:179], v[198:199], off offset:816
	global_load_b128 v[180:183], v[198:199], off offset:2400
	;; [unrolled: 1-line block ×14, first 2 shown]
	scratch_load_b32 v16, off, off          ; 4-byte Folded Reload
	s_waitcnt vmcnt(0)
	v_lshl_or_b32 v16, v16, 4, 0x6000
	s_clause 0x2
	global_load_b128 v[192:195], v[194:195], off offset:2512
	global_load_b128 v[222:225], v[200:201], off offset:1584
	global_load_b128 v[226:229], v16, s[2:3]
	ds_load_b128 v[230:233], v252 offset:816
	ds_load_b128 v[234:237], v252 offset:2400
	;; [unrolled: 1-line block ×6, first 2 shown]
	s_waitcnt lgkmcnt(5)
	v_mul_f64 v[116:117], v[232:233], v[178:179]
	v_mul_f64 v[118:119], v[230:231], v[178:179]
	s_waitcnt lgkmcnt(4)
	v_mul_f64 v[120:121], v[236:237], v[182:183]
	v_mul_f64 v[122:123], v[234:235], v[182:183]
	s_waitcnt lgkmcnt(3)
	v_mul_f64 v[124:125], v[240:241], v[186:187]
	v_mul_f64 v[126:127], v[238:239], v[186:187]
	v_fma_f64 v[230:231], v[230:231], v[176:177], -v[116:117]
	s_waitcnt lgkmcnt(2)
	v_mul_f64 v[116:117], v[244:245], v[2:3]
	v_mul_f64 v[2:3], v[242:243], v[2:3]
	v_fma_f64 v[232:233], v[232:233], v[176:177], v[118:119]
	ds_load_b128 v[176:179], v252 offset:10320
	v_fma_f64 v[234:235], v[234:235], v[180:181], -v[120:121]
	v_fma_f64 v[236:237], v[236:237], v[180:181], v[122:123]
	ds_load_b128 v[180:183], v252 offset:11904
	s_waitcnt lgkmcnt(3)
	v_mul_f64 v[118:119], v[248:249], v[6:7]
	v_mul_f64 v[6:7], v[246:247], v[6:7]
	s_waitcnt lgkmcnt(2)
	v_mul_f64 v[120:121], v[18:19], v[10:11]
	v_mul_f64 v[10:11], v[16:17], v[10:11]
	v_fma_f64 v[238:239], v[238:239], v[184:185], -v[124:125]
	v_fma_f64 v[240:241], v[240:241], v[184:185], v[126:127]
	s_waitcnt lgkmcnt(1)
	v_mul_f64 v[122:123], v[178:179], v[14:15]
	v_mul_f64 v[124:125], v[176:177], v[14:15]
	s_waitcnt lgkmcnt(0)
	v_mul_f64 v[126:127], v[180:181], v[190:191]
	v_fma_f64 v[184:185], v[242:243], v[0:1], -v[116:117]
	v_fma_f64 v[186:187], v[244:245], v[0:1], v[2:3]
	ds_load_b128 v[0:3], v252 offset:13488
	v_mul_f64 v[116:117], v[182:183], v[190:191]
	v_fma_f64 v[242:243], v[246:247], v[4:5], -v[118:119]
	v_fma_f64 v[244:245], v[248:249], v[4:5], v[6:7]
	ds_load_b128 v[4:7], v252 offset:15072
	ds_load_b128 v[246:249], v252 offset:16656
	v_fma_f64 v[14:15], v[16:17], v[8:9], -v[120:121]
	v_fma_f64 v[16:17], v[18:19], v[8:9], v[10:11]
	ds_load_b128 v[8:11], v252 offset:18240
	s_waitcnt lgkmcnt(3)
	v_mul_f64 v[18:19], v[2:3], v[204:205]
	v_mul_f64 v[118:119], v[0:1], v[204:205]
	v_fma_f64 v[176:177], v[176:177], v[12:13], -v[122:123]
	v_fma_f64 v[178:179], v[178:179], v[12:13], v[124:125]
	v_fma_f64 v[182:183], v[182:183], v[188:189], v[126:127]
	s_waitcnt lgkmcnt(2)
	v_mul_f64 v[12:13], v[6:7], v[208:209]
	v_mul_f64 v[120:121], v[4:5], v[208:209]
	s_waitcnt lgkmcnt(1)
	v_mul_f64 v[122:123], v[248:249], v[212:213]
	v_mul_f64 v[124:125], v[246:247], v[212:213]
	v_fma_f64 v[180:181], v[180:181], v[188:189], -v[116:117]
	ds_load_b128 v[188:191], v252 offset:19824
	s_waitcnt lgkmcnt(1)
	v_mul_f64 v[116:117], v[10:11], v[216:217]
	v_mul_f64 v[126:127], v[8:9], v[216:217]
	v_fma_f64 v[0:1], v[0:1], v[202:203], -v[18:19]
	v_fma_f64 v[2:3], v[2:3], v[202:203], v[118:119]
	s_waitcnt lgkmcnt(0)
	v_mul_f64 v[18:19], v[190:191], v[198:199]
	v_mul_f64 v[118:119], v[188:189], v[198:199]
	ds_load_b128 v[198:201], v252 offset:21408
	v_fma_f64 v[4:5], v[4:5], v[206:207], -v[12:13]
	v_fma_f64 v[6:7], v[6:7], v[206:207], v[120:121]
	ds_load_b128 v[202:205], v252 offset:22992
	ds_load_b128 v[206:209], v252 offset:26160
	v_fma_f64 v[246:247], v[246:247], v[210:211], -v[122:123]
	v_fma_f64 v[248:249], v[248:249], v[210:211], v[124:125]
	ds_load_b128 v[210:213], v252 offset:24576
	v_fma_f64 v[8:9], v[8:9], v[214:215], -v[116:117]
	v_fma_f64 v[10:11], v[10:11], v[214:215], v[126:127]
	s_waitcnt lgkmcnt(3)
	v_mul_f64 v[12:13], v[200:201], v[220:221]
	v_mul_f64 v[120:121], v[198:199], v[220:221]
	v_fma_f64 v[188:189], v[188:189], v[196:197], -v[18:19]
	v_fma_f64 v[190:191], v[190:191], v[196:197], v[118:119]
	s_delay_alu instid0(VALU_DEP_3)
	v_fma_f64 v[196:197], v[200:201], v[218:219], v[120:121]
	s_waitcnt vmcnt(2) lgkmcnt(2)
	v_mul_f64 v[116:117], v[204:205], v[194:195]
	v_mul_f64 v[122:123], v[202:203], v[194:195]
	s_waitcnt vmcnt(0) lgkmcnt(0)
	v_mul_f64 v[126:127], v[212:213], v[228:229]
	v_mul_f64 v[18:19], v[210:211], v[228:229]
	;; [unrolled: 1-line block ×4, first 2 shown]
	v_fma_f64 v[194:195], v[198:199], v[218:219], -v[12:13]
	v_fma_f64 v[198:199], v[202:203], v[192:193], -v[116:117]
	v_fma_f64 v[200:201], v[204:205], v[192:193], v[122:123]
	v_fma_f64 v[210:211], v[210:211], v[226:227], -v[126:127]
	v_fma_f64 v[212:213], v[212:213], v[226:227], v[18:19]
	v_fma_f64 v[202:203], v[206:207], v[222:223], -v[124:125]
	v_fma_f64 v[204:205], v[208:209], v[222:223], v[118:119]
	ds_store_b128 v252, v[230:233] offset:816
	ds_store_b128 v252, v[234:237] offset:2400
	ds_store_b128 v252, v[238:241] offset:3984
	ds_store_b128 v252, v[184:187] offset:5568
	ds_store_b128 v252, v[242:245] offset:7152
	ds_store_b128 v252, v[14:17] offset:8736
	ds_store_b128 v252, v[176:179] offset:10320
	ds_store_b128 v252, v[180:183] offset:11904
	ds_store_b128 v252, v[0:3] offset:13488
	ds_store_b128 v252, v[4:7] offset:15072
	ds_store_b128 v252, v[246:249] offset:16656
	ds_store_b128 v252, v[8:11] offset:18240
	ds_store_b128 v252, v[188:191] offset:19824
	ds_store_b128 v252, v[194:197] offset:21408
	ds_store_b128 v252, v[198:201] offset:22992
	ds_store_b128 v252, v[210:213] offset:24576
	ds_store_b128 v252, v[202:205] offset:26160
.LBB0_9:
	s_or_b32 exec_lo, exec_lo, s0
	s_waitcnt lgkmcnt(0)
	s_barrier
	buffer_gl0_inv
	ds_load_b128 v[196:199], v252
	ds_load_b128 v[240:243], v252 offset:1584
	ds_load_b128 v[20:23], v252 offset:3168
	;; [unrolled: 1-line block ×16, first 2 shown]
	s_and_saveexec_b32 s0, vcc_lo
	s_cbranch_execz .LBB0_11
; %bb.10:
	ds_load_b128 v[0:3], v252 offset:816
	s_waitcnt lgkmcnt(0)
	scratch_store_b128 off, v[0:3], off offset:1428 ; 16-byte Folded Spill
	ds_load_b128 v[0:3], v252 offset:2400
	s_waitcnt lgkmcnt(0)
	scratch_store_b128 off, v[0:3], off offset:1444 ; 16-byte Folded Spill
	;; [unrolled: 3-line block ×17, first 2 shown]
.LBB0_11:
	s_or_b32 exec_lo, exec_lo, s0
	s_waitcnt lgkmcnt(15)
	v_add_f64 v[0:1], v[196:197], v[240:241]
	v_add_f64 v[2:3], v[198:199], v[242:243]
	s_waitcnt lgkmcnt(8)
	scratch_store_b128 off, v[4:7], off offset:1684 ; 16-byte Folded Spill
	s_waitcnt lgkmcnt(7)
	scratch_store_b128 off, v[8:11], off offset:1700 ; 16-byte Folded Spill
	s_mov_b32 s28, 0x5d8e7cdc
	s_mov_b32 s40, 0x2a9d6da3
	;; [unrolled: 1-line block ×32, first 2 shown]
	s_waitcnt lgkmcnt(0)
	v_add_f64 v[250:251], v[240:241], -v[188:189]
	s_mov_b32 s57, 0x3fc7851a
	v_add_f64 v[0:1], v[0:1], v[20:21]
	v_add_f64 v[2:3], v[2:3], v[22:23]
	s_mov_b32 s56, s36
	v_add_f64 v[246:247], v[232:233], v[208:209]
	s_mov_b32 s43, 0x3fd71e95
	s_mov_b32 s45, 0x3fe58eea
	;; [unrolled: 1-line block ×14, first 2 shown]
	v_add_f64 v[244:245], v[234:235], v[210:211]
	v_add_f64 v[248:249], v[234:235], -v[210:211]
	v_add_f64 v[0:1], v[0:1], v[192:193]
	v_add_f64 v[2:3], v[2:3], v[194:195]
	s_delay_alu instid0(VALU_DEP_3)
	v_mul_f64 v[178:179], v[248:249], s[48:49]
	v_mul_f64 v[174:175], v[248:249], s[34:35]
	;; [unrolled: 1-line block ×6, first 2 shown]
	v_add_f64 v[0:1], v[0:1], v[232:233]
	v_add_f64 v[2:3], v[2:3], v[234:235]
	;; [unrolled: 1-line block ×3, first 2 shown]
	v_fma_f64 v[72:73], v[246:247], s[8:9], v[174:175]
	v_fma_f64 v[74:75], v[246:247], s[8:9], -v[174:175]
	v_fma_f64 v[184:185], v[246:247], s[30:31], v[170:171]
	v_fma_f64 v[170:171], v[246:247], s[30:31], -v[170:171]
	;; [unrolled: 2-line block ×4, first 2 shown]
	v_add_f64 v[0:1], v[0:1], v[224:225]
	v_add_f64 v[2:3], v[2:3], v[226:227]
	s_delay_alu instid0(VALU_DEP_2) | instskip(NEXT) | instid1(VALU_DEP_2)
	v_add_f64 v[0:1], v[0:1], v[220:221]
	v_add_f64 v[2:3], v[2:3], v[222:223]
	s_delay_alu instid0(VALU_DEP_2) | instskip(NEXT) | instid1(VALU_DEP_2)
	;; [unrolled: 3-line block ×3, first 2 shown]
	v_add_f64 v[0:1], v[0:1], v[4:5]
	v_add_f64 v[2:3], v[2:3], v[6:7]
	v_add_f64 v[4:5], v[242:243], -v[190:191]
	v_add_f64 v[6:7], v[240:241], v[188:189]
	v_add_f64 v[240:241], v[224:225], v[236:237]
	;; [unrolled: 1-line block ×5, first 2 shown]
	v_mul_f64 v[10:11], v[4:5], s[28:29]
	v_mul_f64 v[12:13], v[4:5], s[40:41]
	;; [unrolled: 1-line block ×8, first 2 shown]
	v_add_f64 v[242:243], v[232:233], -v[208:209]
	v_add_f64 v[232:233], v[224:225], -v[236:237]
	v_add_f64 v[224:225], v[222:223], v[230:231]
	v_add_f64 v[222:223], v[222:223], -v[230:231]
	v_add_f64 v[0:1], v[0:1], v[216:217]
	v_add_f64 v[2:3], v[2:3], v[218:219]
	v_mul_f64 v[120:121], v[8:9], s[0:1]
	v_fma_f64 v[122:123], v[6:7], s[0:1], v[10:11]
	v_fma_f64 v[10:11], v[6:7], s[0:1], -v[10:11]
	v_fma_f64 v[124:125], v[6:7], s[2:3], v[12:13]
	v_fma_f64 v[12:13], v[6:7], s[2:3], -v[12:13]
	v_fma_f64 v[126:127], v[6:7], s[8:9], v[14:15]
	v_fma_f64 v[14:15], v[6:7], s[8:9], -v[14:15]
	v_fma_f64 v[128:129], v[6:7], s[18:19], v[16:17]
	v_fma_f64 v[16:17], v[6:7], s[18:19], -v[16:17]
	v_fma_f64 v[130:131], v[6:7], s[30:31], v[18:19]
	v_fma_f64 v[18:19], v[6:7], s[30:31], -v[18:19]
	v_fma_f64 v[132:133], v[6:7], s[26:27], v[116:117]
	v_fma_f64 v[116:117], v[6:7], s[26:27], -v[116:117]
	v_fma_f64 v[134:135], v[6:7], s[24:25], v[118:119]
	v_fma_f64 v[118:119], v[6:7], s[24:25], -v[118:119]
	v_fma_f64 v[136:137], v[6:7], s[22:23], v[4:5]
	v_fma_f64 v[4:5], v[6:7], s[22:23], -v[4:5]
	v_mul_f64 v[6:7], v[8:9], s[2:3]
	v_mul_f64 v[138:139], v[8:9], s[8:9]
	;; [unrolled: 1-line block ×7, first 2 shown]
	v_add_f64 v[0:1], v[0:1], v[228:229]
	v_add_f64 v[2:3], v[2:3], v[230:231]
	v_fma_f64 v[148:149], v[250:251], s[42:43], v[120:121]
	v_fma_f64 v[120:121], v[250:251], s[28:29], v[120:121]
	v_add_f64 v[122:123], v[196:197], v[122:123]
	v_add_f64 v[10:11], v[196:197], v[10:11]
	;; [unrolled: 1-line block ×15, first 2 shown]
	v_fma_f64 v[150:151], v[250:251], s[44:45], v[6:7]
	v_fma_f64 v[6:7], v[250:251], s[40:41], v[6:7]
	;; [unrolled: 1-line block ×8, first 2 shown]
	v_add_f64 v[136:137], v[196:197], v[136:137]
	v_add_f64 v[196:197], v[192:193], v[204:205]
	v_add_f64 v[192:193], v[192:193], -v[204:205]
	v_add_f64 v[0:1], v[0:1], v[236:237]
	v_add_f64 v[2:3], v[2:3], v[238:239]
	v_add_f64 v[236:237], v[226:227], -v[238:239]
	v_add_f64 v[226:227], v[220:221], v[228:229]
	v_add_f64 v[220:221], v[220:221], -v[228:229]
	;; [unrolled: 2-line block ×4, first 2 shown]
	v_fma_f64 v[216:217], v[250:251], s[52:53], v[146:147]
	v_fma_f64 v[146:147], v[250:251], s[14:15], v[146:147]
	v_add_f64 v[148:149], v[198:199], v[148:149]
	v_add_f64 v[120:121], v[198:199], v[120:121]
	;; [unrolled: 1-line block ×12, first 2 shown]
	v_fma_f64 v[208:209], v[250:251], s[50:51], v[142:143]
	v_fma_f64 v[142:143], v[250:251], s[38:39], v[142:143]
	;; [unrolled: 1-line block ×4, first 2 shown]
	v_add_f64 v[250:251], v[20:21], -v[200:201]
	v_add_f64 v[216:217], v[198:199], v[216:217]
	v_add_f64 v[146:147], v[198:199], v[146:147]
	v_mul_f64 v[42:43], v[238:239], s[2:3]
	v_mul_f64 v[44:45], v[238:239], s[26:27]
	v_mul_f64 v[46:47], v[238:239], s[22:23]
	v_mul_f64 v[48:49], v[238:239], s[24:25]
	v_mul_f64 v[50:51], v[238:239], s[30:31]
	v_mul_f64 v[52:53], v[238:239], s[8:9]
	v_mul_f64 v[54:55], v[238:239], s[0:1]
	v_add_f64 v[0:1], v[0:1], v[204:205]
	v_add_f64 v[2:3], v[2:3], v[206:207]
	v_add_f64 v[204:205], v[22:23], -v[202:203]
	v_add_f64 v[208:209], v[198:199], v[208:209]
	v_add_f64 v[142:143], v[198:199], v[142:143]
	;; [unrolled: 1-line block ×4, first 2 shown]
	v_fma_f64 v[60:61], v[250:251], s[56:57], v[46:47]
	v_fma_f64 v[46:47], v[250:251], s[36:37], v[46:47]
	;; [unrolled: 1-line block ×10, first 2 shown]
	v_add_f64 v[0:1], v[0:1], v[200:201]
	scratch_store_b64 off, v[4:5], off offset:1732 ; 8-byte Folded Spill
	v_add_f64 v[4:5], v[198:199], v[8:9]
	v_add_f64 v[198:199], v[194:195], v[206:207]
	v_add_f64 v[194:195], v[194:195], -v[206:207]
	v_add_f64 v[206:207], v[20:21], v[200:201]
	v_mul_f64 v[200:201], v[204:205], s[16:17]
	v_mul_f64 v[20:21], v[204:205], s[52:53]
	;; [unrolled: 1-line block ×5, first 2 shown]
	v_add_f64 v[50:51], v[50:51], v[144:145]
	v_add_f64 v[52:53], v[52:53], v[146:147]
	v_add_f64 v[68:69], v[68:69], v[230:231]
	scratch_store_b64 off, v[0:1], off offset:1716 ; 8-byte Folded Spill
	v_add_f64 v[0:1], v[2:3], v[202:203]
	scratch_store_b64 off, v[4:5], off offset:1740 ; 8-byte Folded Spill
	v_mul_f64 v[2:3], v[204:205], s[20:21]
	v_mul_f64 v[202:203], v[204:205], s[36:37]
	;; [unrolled: 1-line block ×3, first 2 shown]
	v_fma_f64 v[30:31], v[206:207], s[26:27], v[200:201]
	v_fma_f64 v[200:201], v[206:207], s[26:27], -v[200:201]
	v_fma_f64 v[36:37], v[206:207], s[30:31], v[22:23]
	v_fma_f64 v[22:23], v[206:207], s[30:31], -v[22:23]
	;; [unrolled: 2-line block ×4, first 2 shown]
	v_mul_f64 v[254:255], v[194:195], s[56:57]
	v_mul_f64 v[76:77], v[194:195], s[50:51]
	v_mul_f64 v[78:79], v[194:195], s[44:45]
	v_mul_f64 v[80:81], v[194:195], s[28:29]
	v_mul_f64 v[82:83], v[194:195], s[20:21]
	v_mul_f64 v[110:111], v[198:199], s[18:19]
	v_mul_f64 v[100:101], v[198:199], s[26:27]
	v_mul_f64 v[102:103], v[198:199], s[22:23]
	v_mul_f64 v[104:105], v[198:199], s[30:31]
	v_mul_f64 v[106:107], v[198:199], s[2:3]
	v_mul_f64 v[108:109], v[198:199], s[0:1]
	v_fma_f64 v[4:5], v[246:247], s[26:27], v[178:179]
	v_fma_f64 v[178:179], v[246:247], s[26:27], -v[178:179]
	scratch_store_b64 off, v[0:1], off offset:1724 ; 8-byte Folded Spill
	v_mul_f64 v[0:1], v[204:205], s[40:41]
	v_fma_f64 v[28:29], v[206:207], s[18:19], v[2:3]
	v_fma_f64 v[2:3], v[206:207], s[18:19], -v[2:3]
	v_fma_f64 v[32:33], v[206:207], s[22:23], v[202:203]
	v_fma_f64 v[34:35], v[206:207], s[22:23], -v[202:203]
	;; [unrolled: 2-line block ×4, first 2 shown]
	v_add_f64 v[38:39], v[38:39], v[134:135]
	v_add_f64 v[40:41], v[40:41], v[136:137]
	scratch_load_b64 v[136:137], off, off offset:1732 ; 8-byte Folded Reload
	v_fma_f64 v[88:89], v[196:197], s[22:23], v[254:255]
	v_fma_f64 v[90:91], v[196:197], s[22:23], -v[254:255]
	v_fma_f64 v[254:255], v[196:197], s[30:31], v[76:77]
	v_fma_f64 v[76:77], v[196:197], s[30:31], -v[76:77]
	;; [unrolled: 2-line block ×5, first 2 shown]
	v_fma_f64 v[164:165], v[192:193], s[54:55], v[110:111]
	v_fma_f64 v[156:157], v[192:193], s[36:37], v[102:103]
	;; [unrolled: 1-line block ×10, first 2 shown]
	v_add_f64 v[36:37], v[36:37], v[132:133]
	v_add_f64 v[22:23], v[22:23], v[116:117]
	;; [unrolled: 1-line block ×3, first 2 shown]
	v_mul_f64 v[116:117], v[244:245], s[0:1]
	v_mul_f64 v[118:119], v[244:245], s[8:9]
	v_add_f64 v[14:15], v[200:201], v[14:15]
	v_fma_f64 v[204:205], v[206:207], s[2:3], v[0:1]
	v_fma_f64 v[0:1], v[206:207], s[2:3], -v[0:1]
	v_mul_f64 v[206:207], v[238:239], s[18:19]
	v_fma_f64 v[238:239], v[250:251], s[44:45], v[42:43]
	v_fma_f64 v[42:43], v[250:251], s[40:41], v[42:43]
	v_add_f64 v[28:29], v[28:29], v[124:125]
	v_mul_f64 v[124:125], v[244:245], s[26:27]
	v_add_f64 v[16:17], v[34:35], v[16:17]
	v_add_f64 v[34:35], v[46:47], v[140:141]
	;; [unrolled: 1-line block ×6, first 2 shown]
	v_mul_f64 v[64:65], v[244:245], s[22:23]
	v_add_f64 v[32:33], v[32:33], v[128:129]
	v_add_f64 v[2:3], v[2:3], v[12:13]
	;; [unrolled: 1-line block ×3, first 2 shown]
	v_mul_f64 v[126:127], v[244:245], s[2:3]
	v_add_f64 v[38:39], v[96:97], v[38:39]
	v_add_f64 v[50:51], v[108:109], v[50:51]
	;; [unrolled: 1-line block ×5, first 2 shown]
	v_mul_f64 v[80:81], v[236:237], s[34:35]
	v_fma_f64 v[134:135], v[242:243], s[28:29], v[116:117]
	v_fma_f64 v[116:117], v[242:243], s[42:43], v[116:117]
	v_add_f64 v[14:15], v[90:91], v[14:15]
	v_add_f64 v[122:123], v[204:205], v[122:123]
	;; [unrolled: 1-line block ×3, first 2 shown]
	v_fma_f64 v[56:57], v[250:251], s[54:55], v[206:207]
	v_fma_f64 v[58:59], v[250:251], s[20:21], v[206:207]
	;; [unrolled: 1-line block ×4, first 2 shown]
	v_mul_f64 v[250:251], v[194:195], s[16:17]
	v_mul_f64 v[194:195], v[194:195], s[14:15]
	v_add_f64 v[10:11], v[42:43], v[120:121]
	v_fma_f64 v[142:143], v[242:243], s[16:17], v[124:125]
	v_mul_f64 v[120:121], v[244:245], s[24:25]
	v_add_f64 v[46:47], v[92:93], v[46:47]
	v_add_f64 v[34:35], v[104:105], v[34:35]
	v_fma_f64 v[130:131], v[242:243], s[56:57], v[64:65]
	v_fma_f64 v[64:65], v[242:243], s[36:37], v[64:65]
	v_add_f64 v[18:19], v[78:79], v[18:19]
	v_add_f64 v[20:21], v[106:107], v[20:21]
	v_fma_f64 v[124:125], v[242:243], s[48:49], v[124:125]
	v_fma_f64 v[144:145], v[242:243], s[40:41], v[126:127]
	v_add_f64 v[16:17], v[76:77], v[16:17]
	v_add_f64 v[4:5], v[4:5], v[38:39]
	v_mul_f64 v[76:77], v[236:237], s[52:53]
	v_add_f64 v[12:13], v[88:89], v[12:13]
	v_mul_f64 v[78:79], v[236:237], s[44:45]
	v_add_f64 v[32:33], v[254:255], v[32:33]
	v_add_f64 v[148:149], v[238:239], v[148:149]
	;; [unrolled: 1-line block ×3, first 2 shown]
	v_mul_f64 v[82:83], v[236:237], s[36:37]
	v_mul_f64 v[88:89], v[236:237], s[28:29]
	;; [unrolled: 1-line block ×3, first 2 shown]
	v_add_f64 v[48:49], v[162:163], v[48:49]
	v_mul_f64 v[110:111], v[234:235], s[0:1]
	v_add_f64 v[36:37], v[174:175], v[36:37]
	v_add_f64 v[22:23], v[176:177], v[22:23]
	v_fma_f64 v[126:127], v[242:243], s[44:45], v[126:127]
	v_add_f64 v[14:15], v[170:171], v[14:15]
	v_add_f64 v[84:85], v[84:85], v[122:123]
	;; [unrolled: 1-line block ×7, first 2 shown]
	v_fma_f64 v[86:87], v[196:197], s[26:27], v[250:251]
	v_fma_f64 v[250:251], v[196:197], s[26:27], -v[250:251]
	v_fma_f64 v[98:99], v[196:197], s[24:25], v[194:195]
	v_fma_f64 v[194:195], v[196:197], s[24:25], -v[194:195]
	v_mul_f64 v[196:197], v[198:199], s[8:9]
	v_mul_f64 v[198:199], v[198:199], s[24:25]
	v_add_f64 v[44:45], v[44:45], v[138:139]
	v_add_f64 v[58:59], v[62:63], v[208:209]
	v_mul_f64 v[62:63], v[244:245], s[18:19]
	v_mul_f64 v[66:67], v[244:245], s[30:31]
	v_fma_f64 v[138:139], v[242:243], s[46:47], v[118:119]
	v_fma_f64 v[118:119], v[242:243], s[34:35], v[118:119]
	;; [unrolled: 1-line block ×4, first 2 shown]
	v_mul_f64 v[70:71], v[236:237], s[38:39]
	v_add_f64 v[46:47], v[72:73], v[46:47]
	v_mul_f64 v[72:73], v[234:235], s[22:23]
	v_add_f64 v[34:35], v[116:117], v[34:35]
	v_add_f64 v[18:19], v[74:75], v[18:19]
	v_mul_f64 v[74:75], v[234:235], s[18:19]
	v_add_f64 v[30:31], v[206:207], v[152:153]
	v_fma_f64 v[94:95], v[240:241], s[24:25], v[76:77]
	v_add_f64 v[52:53], v[124:125], v[52:53]
	v_fma_f64 v[76:77], v[240:241], s[24:25], -v[76:77]
	v_fma_f64 v[96:97], v[240:241], s[2:3], v[78:79]
	v_add_f64 v[12:13], v[184:185], v[12:13]
	v_fma_f64 v[78:79], v[240:241], s[2:3], -v[78:79]
	v_add_f64 v[32:33], v[186:187], v[32:33]
	v_fma_f64 v[106:107], v[240:241], s[0:1], v[88:89]
	v_fma_f64 v[108:109], v[240:241], s[26:27], v[90:91]
	v_fma_f64 v[90:91], v[240:241], s[26:27], -v[90:91]
	v_add_f64 v[16:17], v[172:173], v[16:17]
	v_fma_f64 v[88:89], v[240:241], s[0:1], -v[88:89]
	v_add_f64 v[24:25], v[178:179], v[24:25]
	v_add_f64 v[56:57], v[158:159], v[56:57]
	;; [unrolled: 1-line block ×6, first 2 shown]
	v_mul_f64 v[86:87], v[236:237], s[54:55]
	v_fma_f64 v[112:113], v[192:193], s[46:47], v[196:197]
	v_fma_f64 v[114:115], v[192:193], s[34:35], v[196:197]
	;; [unrolled: 1-line block ×6, first 2 shown]
	v_mul_f64 v[198:199], v[248:249], s[20:21]
	v_fma_f64 v[128:129], v[242:243], s[54:55], v[62:63]
	v_fma_f64 v[62:63], v[242:243], s[20:21], v[62:63]
	;; [unrolled: 1-line block ×4, first 2 shown]
	v_add_f64 v[44:45], v[102:103], v[44:45]
	v_mul_f64 v[248:249], v[248:249], s[44:45]
	v_fma_f64 v[92:93], v[240:241], s[30:31], v[70:71]
	v_fma_f64 v[70:71], v[240:241], s[30:31], -v[70:71]
	v_add_f64 v[20:21], v[118:119], v[20:21]
	v_add_f64 v[50:51], v[120:121], v[50:51]
	v_fma_f64 v[122:123], v[232:233], s[56:57], v[72:73]
	v_fma_f64 v[72:73], v[232:233], s[36:37], v[72:73]
	;; [unrolled: 1-line block ×4, first 2 shown]
	v_add_f64 v[30:31], v[156:157], v[30:31]
	v_add_f64 v[12:13], v[96:97], v[12:13]
	v_add_f64 v[14:15], v[78:79], v[14:15]
	v_fma_f64 v[102:103], v[240:241], s[22:23], v[82:83]
	v_add_f64 v[58:59], v[160:161], v[58:59]
	v_add_f64 v[4:5], v[106:107], v[4:5]
	v_mul_f64 v[78:79], v[224:225], s[18:19]
	v_fma_f64 v[82:83], v[240:241], s[22:23], -v[82:83]
	v_add_f64 v[24:25], v[88:89], v[24:25]
	v_add_f64 v[48:49], v[140:141], v[48:49]
	;; [unrolled: 1-line block ×4, first 2 shown]
	v_mul_f64 v[60:61], v[234:235], s[30:31]
	v_mul_f64 v[96:97], v[228:229], s[26:27]
	v_fma_f64 v[104:105], v[240:241], s[18:19], v[86:87]
	v_add_f64 v[112:113], v[112:113], v[148:149]
	v_add_f64 v[10:11], v[114:115], v[10:11]
	;; [unrolled: 1-line block ×5, first 2 shown]
	v_fma_f64 v[100:101], v[240:241], s[8:9], v[80:81]
	v_fma_f64 v[180:181], v[246:247], s[18:19], v[198:199]
	v_fma_f64 v[182:183], v[246:247], s[18:19], -v[198:199]
	v_fma_f64 v[198:199], v[246:247], s[22:23], v[168:169]
	v_fma_f64 v[168:169], v[246:247], s[22:23], -v[168:169]
	v_fma_f64 v[86:87], v[240:241], s[18:19], -v[86:87]
	v_add_f64 v[44:45], v[66:67], v[44:45]
	v_mul_f64 v[66:67], v[234:235], s[8:9]
	v_fma_f64 v[8:9], v[246:247], s[2:3], v[248:249]
	v_fma_f64 v[246:247], v[246:247], s[2:3], -v[248:249]
	v_fma_f64 v[80:81], v[240:241], s[8:9], -v[80:81]
	v_add_f64 v[20:21], v[72:73], v[20:21]
	v_mul_f64 v[72:73], v[224:225], s[30:31]
	v_add_f64 v[50:51], v[74:75], v[50:51]
	v_add_f64 v[30:31], v[132:133], v[30:31]
	;; [unrolled: 1-line block ×4, first 2 shown]
	v_mul_f64 v[102:103], v[228:229], s[2:3]
	v_add_f64 v[18:19], v[82:83], v[18:19]
	v_mul_f64 v[82:83], v[224:225], s[22:23]
	v_add_f64 v[48:49], v[124:125], v[48:49]
	v_fma_f64 v[114:115], v[232:233], s[50:51], v[60:61]
	v_fma_f64 v[60:61], v[232:233], s[38:39], v[60:61]
	;; [unrolled: 1-line block ×4, first 2 shown]
	v_add_f64 v[36:37], v[104:105], v[36:37]
	v_add_f64 v[98:99], v[128:129], v[112:113]
	;; [unrolled: 1-line block ×3, first 2 shown]
	v_mul_f64 v[62:63], v[234:235], s[24:25]
	v_add_f64 v[6:7], v[64:65], v[6:7]
	v_mul_f64 v[64:65], v[234:235], s[2:3]
	v_add_f64 v[42:43], v[130:131], v[42:43]
	v_add_f64 v[84:85], v[180:181], v[84:85]
	;; [unrolled: 1-line block ×6, first 2 shown]
	v_mul_f64 v[112:113], v[234:235], s[26:27]
	v_fma_f64 v[120:121], v[232:233], s[46:47], v[66:67]
	v_fma_f64 v[66:67], v[232:233], s[34:35], v[66:67]
	v_add_f64 v[8:9], v[8:9], v[40:41]
	v_add_f64 v[40:41], v[144:145], v[68:69]
	;; [unrolled: 1-line block ×3, first 2 shown]
	v_fma_f64 v[86:87], v[220:221], s[20:21], v[78:79]
	v_add_f64 v[16:17], v[80:81], v[16:17]
	v_mul_f64 v[80:81], v[224:225], s[2:3]
	v_fma_f64 v[78:79], v[220:221], s[54:55], v[78:79]
	v_fma_f64 v[128:129], v[232:233], s[42:43], v[110:111]
	;; [unrolled: 1-line block ×3, first 2 shown]
	v_mul_f64 v[100:101], v[228:229], s[22:23]
	v_mul_f64 v[104:105], v[228:229], s[30:31]
	v_add_f64 v[58:59], v[122:123], v[58:59]
	v_add_f64 v[10:11], v[60:61], v[10:11]
	v_fma_f64 v[116:117], v[232:233], s[14:15], v[62:63]
	v_fma_f64 v[62:63], v[232:233], s[52:53], v[62:63]
	;; [unrolled: 1-line block ×4, first 2 shown]
	v_mul_f64 v[60:61], v[222:223], s[16:17]
	v_add_f64 v[68:69], v[92:93], v[84:85]
	v_add_f64 v[0:1], v[70:71], v[0:1]
	;; [unrolled: 1-line block ×7, first 2 shown]
	v_mul_f64 v[76:77], v[222:223], s[46:47]
	v_fma_f64 v[130:131], v[232:233], s[48:49], v[112:113]
	v_add_f64 v[8:9], v[108:109], v[8:9]
	v_mul_f64 v[98:99], v[228:229], s[0:1]
	v_fma_f64 v[112:113], v[232:233], s[16:17], v[112:113]
	v_fma_f64 v[88:89], v[220:221], s[44:45], v[80:81]
	;; [unrolled: 1-line block ×3, first 2 shown]
	v_add_f64 v[20:21], v[78:79], v[20:21]
	v_add_f64 v[38:39], v[128:129], v[38:39]
	;; [unrolled: 1-line block ×3, first 2 shown]
	v_fma_f64 v[110:111], v[212:213], s[56:57], v[100:101]
	v_add_f64 v[58:59], v[86:87], v[58:59]
	v_fma_f64 v[100:101], v[212:213], s[36:37], v[100:101]
	v_fma_f64 v[114:115], v[212:213], s[50:51], v[104:105]
	;; [unrolled: 1-line block ×3, first 2 shown]
	v_add_f64 v[42:43], v[116:117], v[42:43]
	v_add_f64 v[6:7], v[62:63], v[6:7]
	v_mul_f64 v[62:63], v[224:225], s[26:27]
	v_add_f64 v[44:45], v[64:65], v[44:45]
	v_mul_f64 v[64:65], v[222:223], s[50:51]
	v_fma_f64 v[66:67], v[226:227], s[26:27], v[60:61]
	v_fma_f64 v[60:61], v[226:227], s[26:27], -v[60:61]
	v_add_f64 v[30:31], v[118:119], v[30:31]
	v_add_f64 v[40:41], v[130:131], v[40:41]
	s_waitcnt vmcnt(0)
	v_add_f64 v[26:27], v[26:27], v[136:137]
	scratch_load_b64 v[136:137], off, off offset:1740 ; 8-byte Folded Reload
	v_add_f64 v[48:49], v[88:89], v[48:49]
	v_add_f64 v[50:51], v[80:81], v[50:51]
	v_mul_f64 v[80:81], v[228:229], s[18:19]
	v_fma_f64 v[108:109], v[212:213], s[42:43], v[98:99]
	v_fma_f64 v[98:99], v[212:213], s[28:29], v[98:99]
	;; [unrolled: 1-line block ×5, first 2 shown]
	v_add_f64 v[66:67], v[66:67], v[68:69]
	v_mul_f64 v[68:69], v[222:223], s[28:29]
	v_add_f64 v[0:1], v[60:61], v[0:1]
	v_fma_f64 v[60:61], v[220:221], s[38:39], v[72:73]
	v_fma_f64 v[64:65], v[226:227], s[30:31], -v[64:65]
	v_fma_f64 v[72:73], v[220:221], s[50:51], v[72:73]
	v_add_f64 v[26:27], v[194:195], v[26:27]
	v_add_f64 v[48:49], v[110:111], v[48:49]
	;; [unrolled: 1-line block ×7, first 2 shown]
	v_mul_f64 v[62:63], v[224:225], s[0:1]
	v_add_f64 v[28:29], v[74:75], v[28:29]
	v_mul_f64 v[74:75], v[222:223], s[14:15]
	v_mul_f64 v[84:85], v[224:225], s[8:9]
	v_add_f64 v[42:43], v[60:61], v[42:43]
	v_fma_f64 v[60:61], v[226:227], s[0:1], v[68:69]
	v_add_f64 v[2:3], v[64:65], v[2:3]
	v_add_f64 v[6:7], v[72:73], v[6:7]
	v_mul_f64 v[72:73], v[224:225], s[24:25]
	v_fma_f64 v[68:69], v[226:227], s[0:1], -v[68:69]
	v_add_f64 v[26:27], v[246:247], v[26:27]
	v_fma_f64 v[64:65], v[220:221], s[42:43], v[62:63]
	v_fma_f64 v[62:63], v[220:221], s[28:29], v[62:63]
	;; [unrolled: 1-line block ×4, first 2 shown]
	v_add_f64 v[12:13], v[60:61], v[12:13]
	v_fma_f64 v[60:61], v[226:227], s[24:25], v[74:75]
	v_fma_f64 v[74:75], v[226:227], s[24:25], -v[74:75]
	v_add_f64 v[14:15], v[68:69], v[14:15]
	v_mul_f64 v[68:69], v[222:223], s[54:55]
	v_add_f64 v[26:27], v[90:91], v[26:27]
	v_fma_f64 v[90:91], v[220:221], s[56:57], v[82:83]
	v_fma_f64 v[82:83], v[220:221], s[36:37], v[82:83]
	v_add_f64 v[30:31], v[64:65], v[30:31]
	v_fma_f64 v[64:65], v[220:221], s[52:53], v[72:73]
	v_fma_f64 v[72:73], v[220:221], s[14:15], v[72:73]
	v_add_f64 v[40:41], v[92:93], v[40:41]
	v_add_f64 v[44:45], v[62:63], v[44:45]
	v_mul_f64 v[62:63], v[222:223], s[40:41]
	v_add_f64 v[32:33], v[60:61], v[32:33]
	v_mul_f64 v[60:61], v[222:223], s[36:37]
	v_add_f64 v[16:17], v[74:75], v[16:17]
	v_add_f64 v[38:39], v[90:91], v[38:39]
	;; [unrolled: 1-line block ×4, first 2 shown]
	v_fma_f64 v[64:65], v[226:227], s[18:19], v[68:69]
	v_add_f64 v[34:35], v[72:73], v[34:35]
	v_fma_f64 v[68:69], v[226:227], s[18:19], -v[68:69]
	v_fma_f64 v[74:75], v[226:227], s[2:3], v[62:63]
	v_fma_f64 v[62:63], v[226:227], s[2:3], -v[62:63]
	v_fma_f64 v[72:73], v[226:227], s[22:23], v[60:61]
	v_fma_f64 v[60:61], v[226:227], s[22:23], -v[60:61]
	v_add_f64 v[40:41], v[114:115], v[40:41]
	v_add_f64 v[56:57], v[106:107], v[56:57]
	;; [unrolled: 1-line block ×3, first 2 shown]
	v_fma_f64 v[64:65], v[226:227], s[8:9], v[76:77]
	v_fma_f64 v[76:77], v[226:227], s[8:9], -v[76:77]
	v_add_f64 v[18:19], v[68:69], v[18:19]
	v_add_f64 v[22:23], v[62:63], v[22:23]
	;; [unrolled: 1-line block ×3, first 2 shown]
	v_mul_f64 v[4:5], v[214:215], s[46:47]
	v_mul_f64 v[62:63], v[214:215], s[14:15]
	;; [unrolled: 1-line block ×3, first 2 shown]
	v_add_f64 v[24:25], v[60:61], v[24:25]
	v_mul_f64 v[60:61], v[214:215], s[20:21]
	v_add_f64 v[36:37], v[74:75], v[36:37]
	v_mul_f64 v[74:75], v[228:229], s[8:9]
	v_add_f64 v[34:35], v[96:97], v[34:35]
	v_add_f64 v[64:65], v[64:65], v[8:9]
	;; [unrolled: 1-line block ×3, first 2 shown]
	v_fma_f64 v[76:77], v[218:219], s[8:9], v[4:5]
	v_fma_f64 v[4:5], v[218:219], s[8:9], -v[4:5]
	v_fma_f64 v[78:79], v[218:219], s[24:25], v[62:63]
	v_fma_f64 v[8:9], v[212:213], s[52:53], v[68:69]
	v_fma_f64 v[62:63], v[218:219], s[24:25], -v[62:63]
	v_fma_f64 v[68:69], v[212:213], s[14:15], v[68:69]
	v_fma_f64 v[82:83], v[212:213], s[34:35], v[74:75]
	;; [unrolled: 1-line block ×3, first 2 shown]
	v_add_f64 v[28:29], v[76:77], v[28:29]
	v_add_f64 v[86:87], v[4:5], v[2:3]
	s_clause 0x1
	scratch_load_b128 v[2:5], off, off offset:1684
	scratch_load_b128 v[92:95], off, off offset:1700
	v_add_f64 v[66:67], v[78:79], v[66:67]
	v_add_f64 v[62:63], v[62:63], v[0:1]
	v_fma_f64 v[0:1], v[212:213], s[54:55], v[80:81]
	v_add_f64 v[68:69], v[68:69], v[10:11]
	v_mul_f64 v[10:11], v[214:215], s[28:29]
	v_fma_f64 v[78:79], v[218:219], s[18:19], v[60:61]
	v_add_f64 v[8:9], v[8:9], v[70:71]
	v_mul_f64 v[70:71], v[214:215], s[48:49]
	v_mul_f64 v[76:77], v[214:215], s[36:37]
	v_add_f64 v[42:43], v[82:83], v[42:43]
	v_mul_f64 v[82:83], v[214:215], s[44:45]
	v_add_f64 v[74:75], v[74:75], v[6:7]
	v_fma_f64 v[80:81], v[212:213], s[20:21], v[80:81]
	s_waitcnt vmcnt(2)
	v_add_f64 v[54:55], v[54:55], v[136:137]
	v_add_f64 v[30:31], v[0:1], v[30:31]
	v_fma_f64 v[0:1], v[218:219], s[0:1], v[10:11]
	v_add_f64 v[12:13], v[78:79], v[12:13]
	v_fma_f64 v[10:11], v[218:219], s[0:1], -v[10:11]
	v_fma_f64 v[6:7], v[218:219], s[26:27], -v[70:71]
	v_fma_f64 v[78:79], v[218:219], s[22:23], v[76:77]
	v_fma_f64 v[76:77], v[218:219], s[22:23], -v[76:77]
	v_add_f64 v[44:45], v[80:81], v[44:45]
	v_add_f64 v[54:55], v[192:193], v[54:55]
	;; [unrolled: 1-line block ×3, first 2 shown]
	scratch_load_b64 v[0:1], off, off offset:1716 ; 8-byte Folded Reload
	v_add_f64 v[96:97], v[10:11], v[18:19]
	v_add_f64 v[80:81], v[6:7], v[16:17]
	;; [unrolled: 1-line block ×5, first 2 shown]
	s_delay_alu instid0(VALU_DEP_1) | instskip(SKIP_2) | instid1(VALU_DEP_3)
	v_add_f64 v[54:55], v[112:113], v[54:55]
	v_fma_f64 v[112:113], v[212:213], s[40:41], v[102:103]
	v_fma_f64 v[102:103], v[212:213], s[44:45], v[102:103]
	v_add_f64 v[54:55], v[84:85], v[54:55]
	v_mul_f64 v[84:85], v[214:215], s[38:39]
	s_delay_alu instid0(VALU_DEP_4) | instskip(NEXT) | instid1(VALU_DEP_4)
	v_add_f64 v[38:39], v[112:113], v[38:39]
	v_add_f64 v[52:53], v[102:103], v[52:53]
	s_delay_alu instid0(VALU_DEP_4)
	v_add_f64 v[54:55], v[104:105], v[54:55]
	s_waitcnt vmcnt(1)
	v_add_f64 v[88:89], v[4:5], -v[94:95]
	v_add_f64 v[90:91], v[4:5], v[94:95]
	v_dual_mov_b32 v95, v93 :: v_dual_mov_b32 v94, v92
	v_dual_mov_b32 v93, v3 :: v_dual_mov_b32 v92, v2
	v_fma_f64 v[2:3], v[218:219], s[18:19], -v[60:61]
	v_fma_f64 v[4:5], v[218:219], s[26:27], v[70:71]
	s_delay_alu instid0(VALU_DEP_3)
	v_add_f64 v[60:61], v[92:93], v[94:95]
	v_add_f64 v[70:71], v[92:93], -v[94:95]
	v_fma_f64 v[92:93], v[218:219], s[2:3], v[82:83]
	v_fma_f64 v[82:83], v[218:219], s[2:3], -v[82:83]
	v_fma_f64 v[94:95], v[218:219], s[30:31], v[84:85]
	v_fma_f64 v[84:85], v[218:219], s[30:31], -v[84:85]
	v_mul_f64 v[106:107], v[88:89], s[36:37]
	v_mul_f64 v[98:99], v[90:91], s[22:23]
	;; [unrolled: 1-line block ×5, first 2 shown]
	v_add_f64 v[116:117], v[2:3], v[14:15]
	scratch_load_b64 v[2:3], off, off offset:1724 ; 8-byte Folded Reload
	v_add_f64 v[32:33], v[4:5], v[32:33]
	s_waitcnt vmcnt(0)
	s_waitcnt_vscnt null, 0x0
	s_barrier
	buffer_gl0_inv
	v_add_f64 v[72:73], v[92:93], v[72:73]
	v_mul_f64 v[92:93], v[88:89], s[44:45]
	v_add_f64 v[24:25], v[82:83], v[24:25]
	v_mul_f64 v[82:83], v[90:91], s[26:27]
	;; [unrolled: 2-line block ×4, first 2 shown]
	v_fma_f64 v[4:5], v[60:61], s[22:23], v[106:107]
	v_fma_f64 v[6:7], v[70:71], s[56:57], v[98:99]
	;; [unrolled: 1-line block ×5, first 2 shown]
	v_fma_f64 v[78:79], v[60:61], s[0:1], -v[78:79]
	v_fma_f64 v[76:77], v[60:61], s[24:25], -v[76:77]
	v_add_f64 v[0:1], v[0:1], v[188:189]
	v_fma_f64 v[18:19], v[60:61], s[2:3], v[92:93]
	v_fma_f64 v[92:93], v[60:61], s[2:3], -v[92:93]
	v_add_f64 v[4:5], v[4:5], v[66:67]
	v_mul_f64 v[66:67], v[90:91], s[24:25]
	v_add_f64 v[6:7], v[6:7], v[8:9]
	v_add_f64 v[8:9], v[10:11], v[28:29]
	;; [unrolled: 1-line block ×3, first 2 shown]
	v_mul_f64 v[28:29], v[90:91], s[2:3]
	v_mul_f64 v[42:43], v[88:89], s[16:17]
	v_add_f64 v[12:13], v[16:17], v[12:13]
	v_add_f64 v[192:193], v[76:77], v[116:117]
	;; [unrolled: 1-line block ×4, first 2 shown]
	v_mul_f64 v[32:33], v[90:91], s[8:9]
	v_add_f64 v[196:197], v[92:93], v[80:81]
	v_fma_f64 v[14:15], v[70:71], s[52:53], v[66:67]
	v_fma_f64 v[66:67], v[70:71], s[14:15], v[66:67]
	;; [unrolled: 1-line block ×3, first 2 shown]
	v_fma_f64 v[42:43], v[60:61], s[26:27], -v[42:43]
	s_delay_alu instid0(VALU_DEP_4)
	v_add_f64 v[14:15], v[14:15], v[30:31]
	v_fma_f64 v[30:31], v[70:71], s[40:41], v[28:29]
	v_fma_f64 v[28:29], v[70:71], s[44:45], v[28:29]
	v_add_f64 v[194:195], v[66:67], v[44:45]
	v_add_f64 v[176:177], v[100:101], v[46:47]
	v_mul_f64 v[46:47], v[88:89], s[38:39]
	v_add_f64 v[200:201], v[42:43], v[96:97]
	v_add_f64 v[18:19], v[30:31], v[56:57]
	v_fma_f64 v[30:31], v[70:71], s[48:49], v[82:83]
	v_fma_f64 v[56:57], v[60:61], s[8:9], v[94:95]
	v_fma_f64 v[94:95], v[60:61], s[8:9], -v[94:95]
	v_fma_f64 v[82:83], v[70:71], s[16:17], v[82:83]
	v_add_f64 v[198:199], v[28:29], v[34:35]
	v_add_f64 v[178:179], v[30:31], v[58:59]
	v_fma_f64 v[30:31], v[70:71], s[34:35], v[32:33]
	v_mul_f64 v[58:59], v[88:89], s[54:55]
	v_mul_f64 v[88:89], v[90:91], s[30:31]
	v_fma_f64 v[90:91], v[60:61], s[22:23], -v[106:107]
	v_add_f64 v[180:181], v[56:57], v[36:37]
	v_fma_f64 v[36:37], v[60:61], s[30:31], -v[46:47]
	v_fma_f64 v[56:57], v[70:71], s[20:21], v[84:85]
	v_fma_f64 v[32:33], v[70:71], s[46:47], v[32:33]
	v_add_f64 v[204:205], v[94:95], v[22:23]
	v_add_f64 v[202:203], v[82:83], v[20:21]
	;; [unrolled: 1-line block ×3, first 2 shown]
	v_fma_f64 v[30:31], v[60:61], s[30:31], v[46:47]
	v_fma_f64 v[46:47], v[60:61], s[18:19], v[58:59]
	v_fma_f64 v[48:49], v[60:61], s[18:19], -v[58:59]
	v_fma_f64 v[60:61], v[70:71], s[50:51], v[88:89]
	v_fma_f64 v[58:59], v[70:71], s[54:55], v[84:85]
	;; [unrolled: 1-line block ×5, first 2 shown]
	v_add_f64 v[218:219], v[56:57], v[40:41]
	v_add_f64 v[212:213], v[36:37], v[24:25]
	;; [unrolled: 1-line block ×13, first 2 shown]
	ds_store_b128 v253, v[0:3]
	ds_store_b128 v253, v[4:7] offset:16
	ds_store_b128 v253, v[8:11] offset:32
	;; [unrolled: 1-line block ×16, first 2 shown]
	s_and_saveexec_b32 s33, vcc_lo
	s_cbranch_execz .LBB0_13
; %bb.12:
	s_clause 0xf
	scratch_load_b128 v[132:135], off, off offset:1428
	scratch_load_b128 v[36:39], off, off offset:1444
	scratch_load_b128 v[50:53], off, off offset:1460
	scratch_load_b128 v[68:71], off, off offset:4
	scratch_load_b128 v[54:57], off, off offset:1476
	scratch_load_b128 v[46:49], off, off offset:1492
	scratch_load_b128 v[40:43], off, off offset:1508
	scratch_load_b128 v[30:33], off, off offset:1524
	scratch_load_b128 v[58:61], off, off offset:1540
	scratch_load_b128 v[24:27], off, off offset:1556
	scratch_load_b128 v[72:75], off, off offset:1588
	scratch_load_b128 v[62:65], off, off offset:1572
	scratch_load_b128 v[76:79], off, off offset:1604
	scratch_load_b128 v[80:83], off, off offset:1620
	scratch_load_b128 v[84:87], off, off offset:1636
	scratch_load_b128 v[88:91], off, off offset:1652
	s_waitcnt vmcnt(14)
	v_add_f64 v[0:1], v[134:135], v[38:39]
	v_add_f64 v[2:3], v[132:133], v[36:37]
	s_waitcnt vmcnt(12)
	v_add_f64 v[4:5], v[36:37], -v[68:69]
	v_add_f64 v[8:9], v[38:39], v[70:71]
	v_add_f64 v[6:7], v[38:39], -v[70:71]
	v_add_f64 v[36:37], v[36:37], v[68:69]
	s_waitcnt vmcnt(5)
	v_add_f64 v[176:177], v[24:25], -v[72:73]
	v_add_f64 v[178:179], v[26:27], -v[74:75]
	v_add_f64 v[106:107], v[26:27], v[74:75]
	v_add_f64 v[104:105], v[24:25], v[72:73]
	s_waitcnt vmcnt(3)
	v_add_f64 v[108:109], v[32:33], -v[78:79]
	v_add_f64 v[98:99], v[32:33], v[78:79]
	v_add_f64 v[180:181], v[58:59], -v[62:63]
	v_add_f64 v[182:183], v[30:31], -v[76:77]
	s_waitcnt vmcnt(2)
	v_add_f64 v[184:185], v[40:41], -v[80:81]
	s_waitcnt vmcnt(0)
	v_add_f64 v[16:17], v[54:55], -v[88:89]
	v_add_f64 v[112:113], v[60:61], -v[64:65]
	v_add_f64 v[102:103], v[60:61], v[64:65]
	v_add_f64 v[100:101], v[58:59], v[62:63]
	v_add_f64 v[110:111], v[42:43], -v[82:83]
	v_add_f64 v[96:97], v[30:31], v[76:77]
	v_add_f64 v[38:39], v[42:43], v[82:83]
	;; [unrolled: 1-line block ×3, first 2 shown]
	v_add_f64 v[12:13], v[46:47], -v[84:85]
	v_add_f64 v[0:1], v[0:1], v[52:53]
	v_add_f64 v[2:3], v[2:3], v[50:51]
	v_mul_f64 v[10:11], v[4:5], s[36:37]
	v_mul_f64 v[14:15], v[4:5], s[14:15]
	v_mul_f64 v[18:19], v[4:5], s[16:17]
	v_mul_f64 v[20:21], v[4:5], s[38:39]
	v_mul_f64 v[22:23], v[4:5], s[20:21]
	v_mul_f64 v[142:143], v[176:177], s[54:55]
	v_mul_f64 v[168:169], v[176:177], s[36:37]
	v_mul_f64 v[170:171], v[178:179], s[36:37]
	v_mul_f64 v[136:137], v[108:109], s[46:47]
	v_mul_f64 v[138:139], v[180:181], s[38:39]
	v_mul_f64 v[206:207], v[16:17], s[50:51]
	v_mul_f64 v[140:141], v[112:113], s[38:39]
	v_mul_f64 v[208:209], v[16:17], s[56:57]
	v_mul_f64 v[230:231], v[12:13], s[50:51]
	v_add_f64 v[0:1], v[0:1], v[56:57]
	v_add_f64 v[2:3], v[2:3], v[54:55]
	v_fma_f64 v[66:67], v[8:9], s[18:19], v[22:23]
	v_fma_f64 v[22:23], v[8:9], s[18:19], -v[22:23]
	s_delay_alu instid0(VALU_DEP_4) | instskip(NEXT) | instid1(VALU_DEP_4)
	v_add_f64 v[0:1], v[0:1], v[48:49]
	v_add_f64 v[2:3], v[2:3], v[46:47]
	;; [unrolled: 1-line block ×9, first 2 shown]
	s_delay_alu instid0(VALU_DEP_4) | instskip(NEXT) | instid1(VALU_DEP_4)
	v_add_f64 v[0:1], v[0:1], v[32:33]
	v_add_f64 v[2:3], v[2:3], v[30:31]
	v_add_f64 v[30:31], v[48:49], -v[86:87]
	v_add_f64 v[32:33], v[56:57], -v[90:91]
	v_add_f64 v[48:49], v[54:55], v[88:89]
	v_mul_f64 v[54:55], v[6:7], s[14:15]
	v_mul_f64 v[56:57], v[6:7], s[16:17]
	v_fma_f64 v[212:213], v[42:43], s[30:31], v[206:207]
	v_fma_f64 v[206:207], v[42:43], s[30:31], -v[206:207]
	v_fma_f64 v[214:215], v[42:43], s[22:23], -v[208:209]
	v_fma_f64 v[208:209], v[42:43], s[22:23], v[208:209]
	v_fma_f64 v[236:237], v[40:41], s[30:31], -v[230:231]
	v_fma_f64 v[230:231], v[40:41], s[30:31], v[230:231]
	v_add_f64 v[0:1], v[0:1], v[60:61]
	v_add_f64 v[2:3], v[2:3], v[58:59]
	v_fma_f64 v[58:59], v[8:9], s[22:23], v[10:11]
	v_fma_f64 v[10:11], v[8:9], s[22:23], -v[10:11]
	v_fma_f64 v[60:61], v[8:9], s[24:25], v[14:15]
	v_fma_f64 v[14:15], v[8:9], s[24:25], -v[14:15]
	v_mul_f64 v[218:219], v[32:33], s[50:51]
	v_mul_f64 v[220:221], v[32:33], s[56:57]
	v_add_f64 v[0:1], v[0:1], v[26:27]
	v_add_f64 v[2:3], v[2:3], v[24:25]
	v_mul_f64 v[24:25], v[4:5], s[34:35]
	v_mul_f64 v[26:27], v[4:5], s[40:41]
	;; [unrolled: 1-line block ×3, first 2 shown]
	v_add_f64 v[10:11], v[134:135], v[10:11]
	v_add_f64 v[60:61], v[134:135], v[60:61]
	v_add_f64 v[14:15], v[134:135], v[14:15]
	v_fma_f64 v[224:225], v[48:49], s[30:31], -v[218:219]
	v_fma_f64 v[218:219], v[48:49], s[30:31], v[218:219]
	v_fma_f64 v[226:227], v[48:49], s[22:23], v[220:221]
	v_fma_f64 v[220:221], v[48:49], s[22:23], -v[220:221]
	v_add_f64 v[0:1], v[0:1], v[74:75]
	v_add_f64 v[2:3], v[2:3], v[72:73]
	scratch_load_b128 v[72:75], off, off offset:1668 ; 16-byte Folded Reload
	v_add_f64 v[0:1], v[0:1], v[64:65]
	v_add_f64 v[2:3], v[2:3], v[62:63]
	v_fma_f64 v[62:63], v[8:9], s[26:27], v[18:19]
	v_fma_f64 v[18:19], v[8:9], s[26:27], -v[18:19]
	v_fma_f64 v[64:65], v[8:9], s[30:31], v[20:21]
	v_fma_f64 v[20:21], v[8:9], s[30:31], -v[20:21]
	v_add_f64 v[0:1], v[0:1], v[78:79]
	v_add_f64 v[2:3], v[2:3], v[76:77]
	;; [unrolled: 1-line block ×8, first 2 shown]
	v_fma_f64 v[82:83], v[36:37], s[24:25], -v[54:55]
	v_fma_f64 v[54:55], v[36:37], s[24:25], v[54:55]
	s_delay_alu instid0(VALU_DEP_4) | instskip(NEXT) | instid1(VALU_DEP_4)
	v_add_f64 v[0:1], v[0:1], v[86:87]
	v_add_f64 v[2:3], v[2:3], v[84:85]
	v_fma_f64 v[84:85], v[36:37], s[26:27], -v[56:57]
	v_fma_f64 v[56:57], v[36:37], s[26:27], v[56:57]
	v_add_f64 v[116:117], v[132:133], v[82:83]
	v_add_f64 v[54:55], v[132:133], v[54:55]
	v_mul_f64 v[82:83], v[30:31], s[44:45]
	v_add_f64 v[0:1], v[0:1], v[90:91]
	v_add_f64 v[2:3], v[2:3], v[88:89]
	;; [unrolled: 1-line block ×4, first 2 shown]
	v_mul_f64 v[84:85], v[184:185], s[16:17]
	s_waitcnt vmcnt(0)
	v_add_f64 v[0:1], v[0:1], v[74:75]
	v_add_f64 v[2:3], v[2:3], v[72:73]
	v_add_f64 v[28:29], v[50:51], -v[72:73]
	v_add_f64 v[34:35], v[52:53], -v[74:75]
	v_add_f64 v[44:45], v[52:53], v[74:75]
	v_add_f64 v[50:51], v[50:51], v[72:73]
	v_mul_f64 v[52:53], v[6:7], s[36:37]
	v_mul_f64 v[72:73], v[6:7], s[34:35]
	;; [unrolled: 1-line block ×3, first 2 shown]
	v_add_f64 v[78:79], v[0:1], v[70:71]
	v_fma_f64 v[0:1], v[8:9], s[8:9], -v[24:25]
	v_add_f64 v[76:77], v[2:3], v[68:69]
	v_fma_f64 v[2:3], v[8:9], s[2:3], -v[26:27]
	v_fma_f64 v[68:69], v[8:9], s[0:1], -v[4:5]
	v_fma_f64 v[24:25], v[8:9], s[8:9], v[24:25]
	v_fma_f64 v[26:27], v[8:9], s[2:3], v[26:27]
	;; [unrolled: 1-line block ×3, first 2 shown]
	v_mul_f64 v[8:9], v[6:7], s[38:39]
	v_mul_f64 v[70:71], v[6:7], s[20:21]
	v_mul_f64 v[6:7], v[6:7], s[28:29]
	v_fma_f64 v[80:81], v[36:37], s[22:23], -v[52:53]
	v_fma_f64 v[52:53], v[36:37], s[22:23], v[52:53]
	v_fma_f64 v[90:91], v[36:37], s[8:9], v[72:73]
	v_fma_f64 v[72:73], v[36:37], s[8:9], -v[72:73]
	v_fma_f64 v[94:95], v[36:37], s[2:3], v[74:75]
	v_fma_f64 v[74:75], v[36:37], s[2:3], -v[74:75]
	v_mul_f64 v[144:145], v[28:29], s[40:41]
	v_mul_f64 v[146:147], v[34:35], s[40:41]
	;; [unrolled: 1-line block ×6, first 2 shown]
	v_add_f64 v[124:125], v[134:135], v[0:1]
	v_mul_f64 v[0:1], v[28:29], s[42:43]
	v_add_f64 v[126:127], v[134:135], v[2:3]
	v_add_f64 v[24:25], v[134:135], v[24:25]
	;; [unrolled: 1-line block ×4, first 2 shown]
	v_fma_f64 v[86:87], v[36:37], s[30:31], -v[8:9]
	v_fma_f64 v[8:9], v[36:37], s[30:31], v[8:9]
	v_fma_f64 v[88:89], v[36:37], s[18:19], -v[70:71]
	v_fma_f64 v[70:71], v[36:37], s[18:19], v[70:71]
	v_fma_f64 v[114:115], v[36:37], s[0:1], v[6:7]
	v_fma_f64 v[6:7], v[36:37], s[0:1], -v[6:7]
	v_add_f64 v[36:37], v[134:135], v[58:59]
	v_mul_f64 v[4:5], v[34:35], s[42:43]
	v_add_f64 v[58:59], v[132:133], v[80:81]
	v_add_f64 v[52:53], v[132:133], v[52:53]
	;; [unrolled: 1-line block ×5, first 2 shown]
	v_mul_f64 v[80:81], v[12:13], s[44:45]
	v_fma_f64 v[188:189], v[44:45], s[22:23], v[172:173]
	v_fma_f64 v[172:173], v[44:45], s[22:23], -v[172:173]
	v_fma_f64 v[190:191], v[44:45], s[26:27], -v[174:175]
	v_fma_f64 v[174:175], v[44:45], s[26:27], v[174:175]
	v_fma_f64 v[200:201], v[50:51], s[22:23], -v[194:195]
	v_fma_f64 v[194:195], v[50:51], s[22:23], v[194:195]
	v_fma_f64 v[202:203], v[50:51], s[26:27], v[196:197]
	v_fma_f64 v[196:197], v[50:51], s[26:27], -v[196:197]
	v_fma_f64 v[2:3], v[44:45], s[0:1], v[0:1]
	v_fma_f64 v[0:1], v[44:45], s[0:1], -v[0:1]
	v_add_f64 v[120:121], v[132:133], v[86:87]
	v_add_f64 v[122:123], v[132:133], v[8:9]
	;; [unrolled: 1-line block ×8, first 2 shown]
	v_fma_f64 v[6:7], v[50:51], s[0:1], -v[4:5]
	v_mul_f64 v[86:87], v[110:111], s[16:17]
	v_mul_f64 v[134:135], v[182:183], s[46:47]
	v_fma_f64 v[4:5], v[50:51], s[0:1], v[4:5]
	v_add_f64 v[66:67], v[188:189], v[66:67]
	v_add_f64 v[22:23], v[172:173], v[22:23]
	;; [unrolled: 1-line block ×5, first 2 shown]
	v_mul_f64 v[36:37], v[16:17], s[14:15]
	v_add_f64 v[0:1], v[0:1], v[10:11]
	v_mul_f64 v[10:11], v[16:17], s[20:21]
	v_add_f64 v[88:89], v[200:201], v[88:89]
	v_add_f64 v[70:71], v[194:195], v[70:71]
	;; [unrolled: 1-line block ×9, first 2 shown]
	v_fma_f64 v[58:59], v[42:43], s[24:25], v[36:37]
	v_add_f64 v[70:71], v[218:219], v[70:71]
	v_add_f64 v[114:115], v[220:221], v[114:115]
	;; [unrolled: 1-line block ×3, first 2 shown]
	s_delay_alu instid0(VALU_DEP_4) | instskip(SKIP_1) | instid1(VALU_DEP_1)
	v_add_f64 v[2:3], v[58:59], v[2:3]
	v_mul_f64 v[58:59], v[32:33], s[14:15]
	v_fma_f64 v[72:73], v[48:49], s[24:25], -v[58:59]
	s_delay_alu instid0(VALU_DEP_1) | instskip(SKIP_1) | instid1(VALU_DEP_1)
	v_add_f64 v[6:7], v[72:73], v[6:7]
	v_fma_f64 v[72:73], v[40:41], s[2:3], v[80:81]
	v_add_f64 v[2:3], v[72:73], v[2:3]
	v_fma_f64 v[72:73], v[46:47], s[2:3], -v[82:83]
	s_delay_alu instid0(VALU_DEP_1) | instskip(SKIP_1) | instid1(VALU_DEP_1)
	v_add_f64 v[6:7], v[72:73], v[6:7]
	v_fma_f64 v[72:73], v[38:39], s[26:27], v[84:85]
	v_add_f64 v[2:3], v[72:73], v[2:3]
	;; [unrolled: 5-line block ×5, first 2 shown]
	v_mul_f64 v[2:3], v[178:179], s[54:55]
	s_delay_alu instid0(VALU_DEP_1) | instskip(SKIP_1) | instid1(VALU_DEP_2)
	v_fma_f64 v[72:73], v[104:105], s[18:19], -v[2:3]
	v_fma_f64 v[2:3], v[104:105], s[18:19], v[2:3]
	v_add_f64 v[72:73], v[72:73], v[6:7]
	v_fma_f64 v[6:7], v[42:43], s[24:25], -v[36:37]
	v_fma_f64 v[36:37], v[42:43], s[18:19], v[10:11]
	s_delay_alu instid0(VALU_DEP_2) | instskip(SKIP_1) | instid1(VALU_DEP_1)
	v_add_f64 v[0:1], v[6:7], v[0:1]
	v_fma_f64 v[6:7], v[48:49], s[24:25], v[58:59]
	v_add_f64 v[4:5], v[6:7], v[4:5]
	v_fma_f64 v[6:7], v[40:41], s[2:3], -v[80:81]
	s_delay_alu instid0(VALU_DEP_1) | instskip(SKIP_1) | instid1(VALU_DEP_1)
	v_add_f64 v[0:1], v[6:7], v[0:1]
	v_fma_f64 v[6:7], v[46:47], s[2:3], v[82:83]
	v_add_f64 v[4:5], v[6:7], v[4:5]
	v_fma_f64 v[6:7], v[38:39], s[26:27], -v[84:85]
	s_delay_alu instid0(VALU_DEP_1) | instskip(SKIP_1) | instid1(VALU_DEP_1)
	v_add_f64 v[0:1], v[6:7], v[0:1]
	v_fma_f64 v[6:7], v[92:93], s[26:27], v[86:87]
	v_add_f64 v[4:5], v[6:7], v[4:5]
	v_fma_f64 v[6:7], v[98:99], s[8:9], -v[134:135]
	v_mul_f64 v[134:135], v[182:183], s[36:37]
	s_delay_alu instid0(VALU_DEP_2) | instskip(SKIP_2) | instid1(VALU_DEP_2)
	v_add_f64 v[0:1], v[6:7], v[0:1]
	v_fma_f64 v[6:7], v[96:97], s[8:9], v[136:137]
	v_mul_f64 v[136:137], v[108:109], s[36:37]
	v_add_f64 v[4:5], v[6:7], v[4:5]
	v_fma_f64 v[6:7], v[102:103], s[30:31], -v[138:139]
	v_mul_f64 v[138:139], v[180:181], s[44:45]
	s_delay_alu instid0(VALU_DEP_2) | instskip(SKIP_2) | instid1(VALU_DEP_2)
	v_add_f64 v[0:1], v[6:7], v[0:1]
	v_fma_f64 v[6:7], v[100:101], s[30:31], v[140:141]
	v_mul_f64 v[140:141], v[112:113], s[44:45]
	v_add_f64 v[4:5], v[6:7], v[4:5]
	v_fma_f64 v[6:7], v[106:107], s[18:19], -v[142:143]
	v_mul_f64 v[142:143], v[176:177], s[38:39]
	s_delay_alu instid0(VALU_DEP_3) | instskip(NEXT) | instid1(VALU_DEP_3)
	v_add_f64 v[80:81], v[2:3], v[4:5]
	v_add_f64 v[82:83], v[6:7], v[0:1]
	v_mul_f64 v[0:1], v[28:29], s[46:47]
	v_mul_f64 v[4:5], v[34:35], s[46:47]
	s_delay_alu instid0(VALU_DEP_2) | instskip(NEXT) | instid1(VALU_DEP_2)
	v_fma_f64 v[2:3], v[44:45], s[8:9], v[0:1]
	v_fma_f64 v[6:7], v[50:51], s[8:9], -v[4:5]
	v_fma_f64 v[0:1], v[44:45], s[8:9], -v[0:1]
	v_fma_f64 v[4:5], v[50:51], s[8:9], v[4:5]
	s_delay_alu instid0(VALU_DEP_4) | instskip(NEXT) | instid1(VALU_DEP_4)
	v_add_f64 v[2:3], v[2:3], v[60:61]
	v_add_f64 v[6:7], v[6:7], v[116:117]
	v_mul_f64 v[116:117], v[110:111], s[28:29]
	v_add_f64 v[0:1], v[0:1], v[14:15]
	v_add_f64 v[4:5], v[4:5], v[54:55]
	v_mul_f64 v[14:15], v[28:29], s[50:51]
	v_mul_f64 v[54:55], v[32:33], s[28:29]
	v_add_f64 v[2:3], v[36:37], v[2:3]
	v_mul_f64 v[36:37], v[32:33], s[20:21]
	s_delay_alu instid0(VALU_DEP_1) | instskip(NEXT) | instid1(VALU_DEP_1)
	v_fma_f64 v[52:53], v[48:49], s[18:19], -v[36:37]
	v_add_f64 v[6:7], v[52:53], v[6:7]
	v_mul_f64 v[52:53], v[12:13], s[48:49]
	s_delay_alu instid0(VALU_DEP_1) | instskip(NEXT) | instid1(VALU_DEP_1)
	v_fma_f64 v[58:59], v[40:41], s[26:27], v[52:53]
	v_add_f64 v[2:3], v[58:59], v[2:3]
	v_mul_f64 v[58:59], v[30:31], s[48:49]
	s_delay_alu instid0(VALU_DEP_1) | instskip(NEXT) | instid1(VALU_DEP_1)
	v_fma_f64 v[60:61], v[46:47], s[26:27], -v[58:59]
	v_add_f64 v[6:7], v[60:61], v[6:7]
	v_mul_f64 v[60:61], v[184:185], s[28:29]
	s_delay_alu instid0(VALU_DEP_1) | instskip(NEXT) | instid1(VALU_DEP_1)
	v_fma_f64 v[84:85], v[38:39], s[0:1], v[60:61]
	v_add_f64 v[2:3], v[84:85], v[2:3]
	v_fma_f64 v[84:85], v[92:93], s[0:1], -v[116:117]
	s_delay_alu instid0(VALU_DEP_1) | instskip(SKIP_1) | instid1(VALU_DEP_1)
	v_add_f64 v[6:7], v[84:85], v[6:7]
	v_fma_f64 v[84:85], v[98:99], s[22:23], v[134:135]
	v_add_f64 v[2:3], v[84:85], v[2:3]
	v_fma_f64 v[84:85], v[96:97], s[22:23], -v[136:137]
	s_delay_alu instid0(VALU_DEP_1) | instskip(SKIP_1) | instid1(VALU_DEP_1)
	v_add_f64 v[6:7], v[84:85], v[6:7]
	;; [unrolled: 5-line block ×3, first 2 shown]
	v_fma_f64 v[84:85], v[106:107], s[30:31], v[142:143]
	v_add_f64 v[86:87], v[84:85], v[2:3]
	v_mul_f64 v[2:3], v[178:179], s[38:39]
	s_delay_alu instid0(VALU_DEP_1) | instskip(NEXT) | instid1(VALU_DEP_1)
	v_fma_f64 v[84:85], v[104:105], s[30:31], -v[2:3]
	v_add_f64 v[84:85], v[84:85], v[6:7]
	v_fma_f64 v[6:7], v[42:43], s[18:19], -v[10:11]
	v_fma_f64 v[10:11], v[104:105], s[30:31], v[2:3]
	s_delay_alu instid0(VALU_DEP_2) | instskip(SKIP_2) | instid1(VALU_DEP_2)
	v_add_f64 v[0:1], v[6:7], v[0:1]
	v_fma_f64 v[6:7], v[48:49], s[18:19], v[36:37]
	v_mul_f64 v[36:37], v[34:35], s[50:51]
	v_add_f64 v[4:5], v[6:7], v[4:5]
	v_fma_f64 v[6:7], v[40:41], s[26:27], -v[52:53]
	v_mul_f64 v[52:53], v[16:17], s[28:29]
	s_delay_alu instid0(VALU_DEP_2) | instskip(SKIP_2) | instid1(VALU_DEP_2)
	v_add_f64 v[0:1], v[6:7], v[0:1]
	v_fma_f64 v[6:7], v[46:47], s[26:27], v[58:59]
	v_mul_f64 v[58:59], v[12:13], s[14:15]
	v_add_f64 v[4:5], v[6:7], v[4:5]
	v_fma_f64 v[6:7], v[38:39], s[0:1], -v[60:61]
	v_mul_f64 v[60:61], v[30:31], s[14:15]
	;; [unrolled: 7-line block ×5, first 2 shown]
	s_delay_alu instid0(VALU_DEP_2) | instskip(NEXT) | instid1(VALU_DEP_4)
	v_add_f64 v[2:3], v[6:7], v[0:1]
	v_add_f64 v[0:1], v[10:11], v[4:5]
	v_fma_f64 v[4:5], v[44:45], s[30:31], v[14:15]
	v_fma_f64 v[6:7], v[50:51], s[30:31], -v[36:37]
	v_fma_f64 v[10:11], v[42:43], s[0:1], v[52:53]
	v_fma_f64 v[14:15], v[44:45], s[30:31], -v[14:15]
	;; [unrolled: 2-line block ×3, first 2 shown]
	v_add_f64 v[4:5], v[4:5], v[62:63]
	v_add_f64 v[6:7], v[6:7], v[118:119]
	v_mul_f64 v[62:63], v[184:185], s[54:55]
	v_mul_f64 v[118:119], v[182:183], s[40:41]
	v_add_f64 v[14:15], v[14:15], v[18:19]
	v_mul_f64 v[18:19], v[12:13], s[34:35]
	v_add_f64 v[36:37], v[36:37], v[56:57]
	v_add_f64 v[4:5], v[10:11], v[4:5]
	v_fma_f64 v[10:11], v[48:49], s[0:1], -v[54:55]
	v_fma_f64 v[54:55], v[48:49], s[0:1], v[54:55]
	v_add_f64 v[14:15], v[52:53], v[14:15]
	v_mul_f64 v[52:53], v[30:31], s[42:43]
	v_fma_f64 v[232:233], v[40:41], s[8:9], v[18:19]
	v_fma_f64 v[18:19], v[40:41], s[8:9], -v[18:19]
	v_add_f64 v[6:7], v[10:11], v[6:7]
	v_fma_f64 v[10:11], v[40:41], s[24:25], v[58:59]
	v_fma_f64 v[58:59], v[40:41], s[24:25], -v[58:59]
	v_add_f64 v[36:37], v[54:55], v[36:37]
	s_delay_alu instid0(VALU_DEP_3) | instskip(SKIP_4) | instid1(VALU_DEP_4)
	v_add_f64 v[4:5], v[10:11], v[4:5]
	v_fma_f64 v[10:11], v[46:47], s[24:25], -v[60:61]
	v_fma_f64 v[60:61], v[46:47], s[24:25], v[60:61]
	v_add_f64 v[14:15], v[58:59], v[14:15]
	v_mul_f64 v[58:59], v[184:185], s[52:53]
	v_add_f64 v[6:7], v[10:11], v[6:7]
	v_fma_f64 v[10:11], v[38:39], s[18:19], v[62:63]
	v_add_f64 v[36:37], v[60:61], v[36:37]
	v_fma_f64 v[62:63], v[38:39], s[18:19], -v[62:63]
	s_delay_alu instid0(VALU_DEP_3) | instskip(SKIP_1) | instid1(VALU_DEP_3)
	v_add_f64 v[4:5], v[10:11], v[4:5]
	v_fma_f64 v[10:11], v[92:93], s[18:19], -v[116:117]
	v_add_f64 v[14:15], v[62:63], v[14:15]
	v_mul_f64 v[62:63], v[110:111], s[44:45]
	s_delay_alu instid0(VALU_DEP_3) | instskip(SKIP_1) | instid1(VALU_DEP_1)
	v_add_f64 v[6:7], v[10:11], v[6:7]
	v_fma_f64 v[10:11], v[98:99], s[2:3], v[118:119]
	v_add_f64 v[4:5], v[10:11], v[4:5]
	v_fma_f64 v[10:11], v[96:97], s[2:3], -v[134:135]
	s_delay_alu instid0(VALU_DEP_1) | instskip(SKIP_1) | instid1(VALU_DEP_1)
	v_add_f64 v[6:7], v[10:11], v[6:7]
	v_fma_f64 v[10:11], v[102:103], s[22:23], v[136:137]
	v_add_f64 v[4:5], v[10:11], v[4:5]
	v_fma_f64 v[10:11], v[100:101], s[22:23], -v[138:139]
	s_delay_alu instid0(VALU_DEP_1) | instskip(SKIP_1) | instid1(VALU_DEP_1)
	;; [unrolled: 5-line block ×3, first 2 shown]
	v_add_f64 v[4:5], v[4:5], v[10:11]
	v_fma_f64 v[10:11], v[44:45], s[2:3], -v[144:145]
	v_add_f64 v[8:9], v[10:11], v[8:9]
	v_fma_f64 v[10:11], v[50:51], s[2:3], v[146:147]
	s_delay_alu instid0(VALU_DEP_1) | instskip(SKIP_1) | instid1(VALU_DEP_1)
	v_add_f64 v[10:11], v[10:11], v[68:69]
	v_mul_f64 v[68:69], v[16:17], s[34:35]
	v_fma_f64 v[148:149], v[42:43], s[8:9], -v[68:69]
	s_delay_alu instid0(VALU_DEP_1) | instskip(SKIP_1) | instid1(VALU_DEP_1)
	v_add_f64 v[8:9], v[148:149], v[8:9]
	v_mul_f64 v[148:149], v[32:33], s[34:35]
	v_fma_f64 v[150:151], v[48:49], s[8:9], v[148:149]
	s_delay_alu instid0(VALU_DEP_1) | instskip(SKIP_1) | instid1(VALU_DEP_1)
	v_add_f64 v[10:11], v[150:151], v[10:11]
	v_mul_f64 v[150:151], v[12:13], s[20:21]
	v_fma_f64 v[152:153], v[40:41], s[18:19], -v[150:151]
	s_delay_alu instid0(VALU_DEP_1) | instskip(SKIP_1) | instid1(VALU_DEP_1)
	v_add_f64 v[8:9], v[152:153], v[8:9]
	v_mul_f64 v[152:153], v[30:31], s[20:21]
	;; [unrolled: 8-line block ×5, first 2 shown]
	v_fma_f64 v[166:167], v[100:101], s[24:25], v[164:165]
	s_delay_alu instid0(VALU_DEP_1) | instskip(SKIP_1) | instid1(VALU_DEP_1)
	v_add_f64 v[166:167], v[166:167], v[10:11]
	v_fma_f64 v[10:11], v[106:107], s[22:23], -v[168:169]
	v_add_f64 v[10:11], v[10:11], v[8:9]
	v_fma_f64 v[8:9], v[104:105], s[22:23], v[170:171]
	s_delay_alu instid0(VALU_DEP_1) | instskip(SKIP_2) | instid1(VALU_DEP_2)
	v_add_f64 v[8:9], v[8:9], v[166:167]
	v_mul_f64 v[166:167], v[28:29], s[52:53]
	v_mul_f64 v[28:29], v[28:29], s[20:21]
	v_fma_f64 v[186:187], v[44:45], s[24:25], v[166:167]
	v_fma_f64 v[166:167], v[44:45], s[24:25], -v[166:167]
	s_delay_alu instid0(VALU_DEP_3)
	v_fma_f64 v[192:193], v[44:45], s[18:19], -v[28:29]
	v_fma_f64 v[28:29], v[44:45], s[18:19], v[28:29]
	v_fma_f64 v[44:45], v[44:45], s[2:3], v[144:145]
	v_mul_f64 v[144:145], v[34:35], s[52:53]
	v_mul_f64 v[34:35], v[34:35], s[20:21]
	v_add_f64 v[56:57], v[186:187], v[64:65]
	v_add_f64 v[20:21], v[166:167], v[20:21]
	;; [unrolled: 1-line block ×3, first 2 shown]
	v_fma_f64 v[198:199], v[50:51], s[24:25], -v[144:145]
	v_fma_f64 v[144:145], v[50:51], s[24:25], v[144:145]
	v_fma_f64 v[204:205], v[50:51], s[18:19], v[34:35]
	v_fma_f64 v[34:35], v[50:51], s[18:19], -v[34:35]
	v_fma_f64 v[50:51], v[50:51], s[2:3], -v[146:147]
	v_mul_f64 v[146:147], v[16:17], s[44:45]
	v_mul_f64 v[16:17], v[16:17], s[16:17]
	v_add_f64 v[64:65], v[198:199], v[120:121]
	v_add_f64 v[120:121], v[144:145], v[122:123]
	;; [unrolled: 1-line block ×5, first 2 shown]
	v_fma_f64 v[210:211], v[42:43], s[2:3], v[146:147]
	v_fma_f64 v[146:147], v[42:43], s[2:3], -v[146:147]
	v_fma_f64 v[216:217], v[42:43], s[26:27], -v[16:17]
	v_fma_f64 v[16:17], v[42:43], s[26:27], v[16:17]
	v_fma_f64 v[42:43], v[42:43], s[8:9], v[68:69]
	v_mul_f64 v[68:69], v[32:33], s[44:45]
	v_mul_f64 v[32:33], v[32:33], s[16:17]
	v_add_f64 v[34:35], v[44:45], v[130:131]
	v_mul_f64 v[44:45], v[30:31], s[34:35]
	v_mul_f64 v[126:127], v[30:31], s[50:51]
	v_mul_f64 v[30:31], v[30:31], s[36:37]
	v_add_f64 v[50:51], v[50:51], v[132:133]
	v_add_f64 v[94:95], v[204:205], v[94:95]
	v_fma_f64 v[130:131], v[46:47], s[0:1], -v[52:53]
	v_fma_f64 v[52:53], v[46:47], s[0:1], v[52:53]
	v_add_f64 v[54:55], v[210:211], v[56:57]
	v_add_f64 v[20:21], v[146:147], v[20:21]
	v_fma_f64 v[146:147], v[38:39], s[24:25], -v[58:59]
	v_add_f64 v[16:17], v[16:17], v[26:27]
	v_fma_f64 v[58:59], v[38:39], s[24:25], v[58:59]
	v_fma_f64 v[222:223], v[48:49], s[2:3], -v[68:69]
	v_fma_f64 v[68:69], v[48:49], s[2:3], v[68:69]
	v_fma_f64 v[228:229], v[48:49], s[26:27], v[32:33]
	v_fma_f64 v[32:33], v[48:49], s[26:27], -v[32:33]
	v_fma_f64 v[48:49], v[48:49], s[8:9], -v[148:149]
	v_mul_f64 v[148:149], v[12:13], s[42:43]
	v_mul_f64 v[12:13], v[12:13], s[36:37]
	v_fma_f64 v[128:129], v[46:47], s[8:9], -v[44:45]
	v_fma_f64 v[44:45], v[46:47], s[8:9], v[44:45]
	v_fma_f64 v[144:145], v[46:47], s[30:31], v[126:127]
	v_fma_f64 v[126:127], v[46:47], s[30:31], -v[126:127]
	v_add_f64 v[52:53], v[52:53], v[70:71]
	v_add_f64 v[18:19], v[18:19], v[20:21]
	;; [unrolled: 1-line block ×7, first 2 shown]
	v_fma_f64 v[234:235], v[40:41], s[0:1], v[148:149]
	v_fma_f64 v[148:149], v[40:41], s[0:1], -v[148:149]
	v_fma_f64 v[238:239], v[40:41], s[22:23], -v[12:13]
	v_fma_f64 v[12:13], v[40:41], s[22:23], v[12:13]
	v_fma_f64 v[40:41], v[40:41], s[18:19], v[150:151]
	;; [unrolled: 1-line block ×3, first 2 shown]
	v_fma_f64 v[30:31], v[46:47], s[22:23], -v[30:31]
	v_mul_f64 v[32:33], v[184:185], s[36:37]
	v_add_f64 v[88:89], v[214:215], v[122:123]
	v_mul_f64 v[34:35], v[184:185], s[34:35]
	v_add_f64 v[120:121], v[216:217], v[124:125]
	v_add_f64 v[48:49], v[48:49], v[50:51]
	;; [unrolled: 1-line block ×3, first 2 shown]
	v_mul_f64 v[42:43], v[184:185], s[44:45]
	v_add_f64 v[94:95], v[228:229], v[94:95]
	v_fma_f64 v[46:47], v[46:47], s[18:19], -v[152:153]
	v_add_f64 v[70:71], v[126:127], v[114:115]
	v_add_f64 v[54:55], v[128:129], v[56:57]
	v_add_f64 v[20:21], v[44:45], v[64:65]
	v_add_f64 v[56:57], v[130:131], v[68:69]
	v_add_f64 v[68:69], v[144:145], v[90:91]
	v_add_f64 v[44:45], v[234:235], v[66:67]
	v_add_f64 v[22:23], v[148:149], v[22:23]
	v_add_f64 v[12:13], v[12:13], v[16:17]
	v_add_f64 v[16:17], v[30:31], v[26:27]
	v_add_f64 v[26:27], v[40:41], v[28:29]
	v_fma_f64 v[28:29], v[92:93], s[18:19], v[116:117]
	v_fma_f64 v[122:123], v[38:39], s[22:23], v[32:33]
	v_fma_f64 v[32:33], v[38:39], s[22:23], -v[32:33]
	v_fma_f64 v[124:125], v[38:39], s[8:9], v[34:35]
	v_fma_f64 v[34:35], v[38:39], s[8:9], -v[34:35]
	v_fma_f64 v[132:133], v[38:39], s[2:3], -v[42:43]
	v_fma_f64 v[42:43], v[38:39], s[2:3], v[42:43]
	v_fma_f64 v[38:39], v[38:39], s[30:31], v[154:155]
	v_add_f64 v[60:61], v[236:237], v[88:89]
	v_mul_f64 v[88:89], v[110:111], s[52:53]
	v_add_f64 v[64:65], v[238:239], v[120:121]
	v_add_f64 v[66:67], v[150:151], v[94:95]
	v_fma_f64 v[94:95], v[92:93], s[2:3], v[62:63]
	v_fma_f64 v[62:63], v[92:93], s[2:3], -v[62:63]
	v_add_f64 v[46:47], v[46:47], v[48:49]
	v_fma_f64 v[116:117], v[106:107], s[22:23], v[168:169]
	v_fma_f64 v[120:121], v[104:105], s[22:23], -v[170:171]
	v_add_f64 v[12:13], v[58:59], v[12:13]
	v_mul_f64 v[58:59], v[182:183], s[50:51]
	v_add_f64 v[28:29], v[28:29], v[36:37]
	v_mul_f64 v[36:37], v[110:111], s[36:37]
	v_add_f64 v[18:19], v[32:33], v[18:19]
	v_add_f64 v[30:31], v[122:123], v[50:51]
	;; [unrolled: 1-line block ×5, first 2 shown]
	v_mul_f64 v[38:39], v[108:109], s[14:15]
	v_add_f64 v[34:35], v[132:133], v[60:61]
	v_add_f64 v[42:43], v[62:63], v[70:71]
	v_mul_f64 v[70:71], v[108:109], s[28:29]
	v_fma_f64 v[40:41], v[92:93], s[22:23], -v[36:37]
	v_fma_f64 v[32:33], v[92:93], s[22:23], v[36:37]
	v_fma_f64 v[36:37], v[98:99], s[2:3], -v[118:119]
	s_delay_alu instid0(VALU_DEP_3) | instskip(NEXT) | instid1(VALU_DEP_3)
	v_add_f64 v[40:41], v[40:41], v[54:55]
	v_add_f64 v[20:21], v[32:33], v[20:21]
	s_delay_alu instid0(VALU_DEP_3) | instskip(SKIP_2) | instid1(VALU_DEP_2)
	v_add_f64 v[14:15], v[36:37], v[14:15]
	v_fma_f64 v[36:37], v[96:97], s[2:3], v[134:135]
	v_add_f64 v[32:33], v[124:125], v[44:45]
	v_add_f64 v[28:29], v[36:37], v[28:29]
	v_mul_f64 v[36:37], v[182:183], s[54:55]
	s_delay_alu instid0(VALU_DEP_1) | instskip(SKIP_1) | instid1(VALU_DEP_2)
	v_fma_f64 v[44:45], v[98:99], s[18:19], v[36:37]
	v_fma_f64 v[36:37], v[98:99], s[18:19], -v[36:37]
	v_add_f64 v[30:31], v[44:45], v[30:31]
	v_mul_f64 v[44:45], v[108:109], s[54:55]
	s_delay_alu instid0(VALU_DEP_3) | instskip(NEXT) | instid1(VALU_DEP_2)
	v_add_f64 v[18:19], v[36:37], v[18:19]
	v_fma_f64 v[36:37], v[96:97], s[18:19], v[44:45]
	v_fma_f64 v[50:51], v[96:97], s[18:19], -v[44:45]
	s_delay_alu instid0(VALU_DEP_2) | instskip(SKIP_1) | instid1(VALU_DEP_3)
	v_add_f64 v[20:21], v[36:37], v[20:21]
	v_mul_f64 v[36:37], v[182:183], s[14:15]
	v_add_f64 v[40:41], v[50:51], v[40:41]
	s_delay_alu instid0(VALU_DEP_2) | instskip(SKIP_1) | instid1(VALU_DEP_2)
	v_fma_f64 v[44:45], v[98:99], s[24:25], v[36:37]
	v_fma_f64 v[36:37], v[98:99], s[24:25], -v[36:37]
	v_add_f64 v[32:33], v[44:45], v[32:33]
	v_fma_f64 v[44:45], v[102:103], s[22:23], -v[136:137]
	s_delay_alu instid0(VALU_DEP_3) | instskip(NEXT) | instid1(VALU_DEP_2)
	v_add_f64 v[22:23], v[36:37], v[22:23]
	v_add_f64 v[14:15], v[44:45], v[14:15]
	v_fma_f64 v[44:45], v[100:101], s[22:23], v[138:139]
	s_delay_alu instid0(VALU_DEP_1) | instskip(SKIP_1) | instid1(VALU_DEP_1)
	v_add_f64 v[28:29], v[44:45], v[28:29]
	v_mul_f64 v[44:45], v[180:181], s[28:29]
	v_fma_f64 v[50:51], v[102:103], s[0:1], v[44:45]
	v_fma_f64 v[44:45], v[102:103], s[0:1], -v[44:45]
	s_delay_alu instid0(VALU_DEP_2) | instskip(SKIP_1) | instid1(VALU_DEP_3)
	v_add_f64 v[30:31], v[50:51], v[30:31]
	v_mul_f64 v[50:51], v[112:113], s[28:29]
	v_add_f64 v[18:19], v[44:45], v[18:19]
	s_delay_alu instid0(VALU_DEP_2) | instskip(SKIP_1) | instid1(VALU_DEP_2)
	v_fma_f64 v[54:55], v[100:101], s[0:1], -v[50:51]
	v_fma_f64 v[50:51], v[100:101], s[0:1], v[50:51]
	v_add_f64 v[40:41], v[54:55], v[40:41]
	v_mul_f64 v[54:55], v[110:111], s[34:35]
	v_fma_f64 v[110:111], v[92:93], s[24:25], v[88:89]
	v_fma_f64 v[88:89], v[92:93], s[24:25], -v[88:89]
	v_add_f64 v[20:21], v[50:51], v[20:21]
	v_mul_f64 v[50:51], v[176:177], s[44:45]
	v_fma_f64 v[90:91], v[92:93], s[8:9], -v[54:55]
	v_fma_f64 v[54:55], v[92:93], s[8:9], v[54:55]
	v_add_f64 v[16:17], v[88:89], v[16:17]
	v_mul_f64 v[88:89], v[108:109], s[50:51]
	v_fma_f64 v[92:93], v[92:93], s[30:31], -v[156:157]
	v_add_f64 v[60:61], v[110:111], v[66:67]
	v_fma_f64 v[66:67], v[98:99], s[30:31], -v[58:59]
	v_fma_f64 v[58:59], v[98:99], s[30:31], v[58:59]
	v_fma_f64 v[108:109], v[106:107], s[2:3], v[50:51]
	v_fma_f64 v[50:51], v[106:107], s[2:3], -v[50:51]
	v_add_f64 v[48:49], v[90:91], v[56:57]
	v_add_f64 v[52:53], v[54:55], v[52:53]
	v_mul_f64 v[54:55], v[182:183], s[28:29]
	v_add_f64 v[56:57], v[146:147], v[64:65]
	v_add_f64 v[64:65], v[94:95], v[68:69]
	v_fma_f64 v[68:69], v[98:99], s[26:27], v[158:159]
	v_fma_f64 v[90:91], v[96:97], s[24:25], -v[38:39]
	v_fma_f64 v[38:39], v[96:97], s[24:25], v[38:39]
	v_fma_f64 v[94:95], v[96:97], s[0:1], v[70:71]
	v_add_f64 v[46:47], v[92:93], v[46:47]
	v_add_f64 v[12:13], v[58:59], v[12:13]
	v_mul_f64 v[58:59], v[180:181], s[46:47]
	v_fma_f64 v[70:71], v[96:97], s[0:1], -v[70:71]
	v_fma_f64 v[62:63], v[98:99], s[0:1], -v[54:55]
	v_fma_f64 v[54:55], v[98:99], s[0:1], v[54:55]
	v_fma_f64 v[98:99], v[96:97], s[30:31], v[88:89]
	v_fma_f64 v[88:89], v[96:97], s[30:31], -v[88:89]
	v_add_f64 v[26:27], v[68:69], v[26:27]
	v_add_f64 v[38:39], v[38:39], v[52:53]
	v_mul_f64 v[52:53], v[180:181], s[48:49]
	v_mul_f64 v[68:69], v[112:113], s[48:49]
	v_add_f64 v[48:49], v[90:91], v[48:49]
	v_add_f64 v[36:37], v[66:67], v[56:57]
	v_mul_f64 v[90:91], v[112:113], s[46:47]
	v_fma_f64 v[66:67], v[102:103], s[8:9], -v[58:59]
	v_fma_f64 v[58:59], v[102:103], s[8:9], v[58:59]
	v_fma_f64 v[96:97], v[96:97], s[26:27], -v[160:161]
	v_add_f64 v[42:43], v[70:71], v[42:43]
	v_fma_f64 v[70:71], v[102:103], s[24:25], v[162:163]
	v_add_f64 v[34:35], v[62:63], v[34:35]
	v_add_f64 v[24:25], v[54:55], v[24:25]
	v_mul_f64 v[54:55], v[180:181], s[20:21]
	v_add_f64 v[56:57], v[98:99], v[60:61]
	v_add_f64 v[60:61], v[94:95], v[64:65]
	v_add_f64 v[16:17], v[88:89], v[16:17]
	v_fma_f64 v[62:63], v[102:103], s[26:27], v[52:53]
	v_fma_f64 v[52:53], v[102:103], s[26:27], -v[52:53]
	v_mul_f64 v[88:89], v[112:113], s[20:21]
	v_fma_f64 v[92:93], v[100:101], s[26:27], -v[68:69]
	v_fma_f64 v[98:99], v[100:101], s[8:9], v[90:91]
	v_fma_f64 v[90:91], v[100:101], s[8:9], -v[90:91]
	v_add_f64 v[36:37], v[66:67], v[36:37]
	v_add_f64 v[58:59], v[58:59], v[12:13]
	v_fma_f64 v[68:69], v[100:101], s[26:27], v[68:69]
	v_mul_f64 v[66:67], v[178:179], s[44:45]
	v_add_f64 v[46:47], v[96:97], v[46:47]
	v_add_f64 v[26:27], v[70:71], v[26:27]
	v_fma_f64 v[64:65], v[102:103], s[18:19], -v[54:55]
	v_fma_f64 v[54:55], v[102:103], s[18:19], v[54:55]
	v_fma_f64 v[102:103], v[104:105], s[8:9], v[142:143]
	v_add_f64 v[32:33], v[62:63], v[32:33]
	v_add_f64 v[22:23], v[52:53], v[22:23]
	v_fma_f64 v[94:95], v[100:101], s[18:19], v[88:89]
	v_add_f64 v[44:45], v[92:93], v[48:49]
	v_mul_f64 v[48:49], v[176:177], s[16:17]
	v_mul_f64 v[52:53], v[176:177], s[14:15]
	;; [unrolled: 1-line block ×3, first 2 shown]
	v_add_f64 v[112:113], v[90:91], v[16:17]
	v_add_f64 v[56:57], v[98:99], v[56:57]
	v_mul_f64 v[92:93], v[178:179], s[42:43]
	v_fma_f64 v[88:89], v[100:101], s[18:19], -v[88:89]
	v_add_f64 v[38:39], v[68:69], v[38:39]
	v_mul_f64 v[68:69], v[178:179], s[14:15]
	v_fma_f64 v[100:101], v[100:101], s[24:25], -v[164:165]
	v_fma_f64 v[70:71], v[104:105], s[2:3], -v[66:67]
	v_fma_f64 v[66:67], v[104:105], s[2:3], v[66:67]
	v_add_f64 v[158:159], v[116:117], v[26:27]
	v_add_f64 v[34:35], v[64:65], v[34:35]
	v_mul_f64 v[64:65], v[178:179], s[16:17]
	v_add_f64 v[24:25], v[54:55], v[24:25]
	v_add_f64 v[90:91], v[50:51], v[22:23]
	;; [unrolled: 1-line block ×3, first 2 shown]
	v_fma_f64 v[94:95], v[106:107], s[8:9], -v[140:141]
	v_fma_f64 v[54:55], v[106:107], s[26:27], v[48:49]
	v_fma_f64 v[48:49], v[106:107], s[26:27], -v[48:49]
	v_fma_f64 v[12:13], v[106:107], s[24:25], -v[52:53]
	;; [unrolled: 1-line block ×3, first 2 shown]
	v_fma_f64 v[52:53], v[106:107], s[24:25], v[52:53]
	v_fma_f64 v[62:63], v[106:107], s[0:1], v[62:63]
	;; [unrolled: 1-line block ×3, first 2 shown]
	v_add_f64 v[42:43], v[88:89], v[42:43]
	v_fma_f64 v[88:89], v[104:105], s[24:25], v[68:69]
	v_fma_f64 v[68:69], v[104:105], s[24:25], -v[68:69]
	v_fma_f64 v[118:119], v[104:105], s[0:1], -v[92:93]
	v_add_f64 v[46:47], v[100:101], v[46:47]
	v_fma_f64 v[106:107], v[104:105], s[26:27], -v[64:65]
	v_fma_f64 v[64:65], v[104:105], s[26:27], v[64:65]
	v_add_f64 v[104:105], v[70:71], v[44:45]
	v_add_f64 v[14:15], v[94:95], v[14:15]
	;; [unrolled: 1-line block ×16, first 2 shown]
	scratch_load_b32 v20, off, off offset:1752 ; 4-byte Folded Reload
	v_add_f64 v[106:107], v[108:109], v[32:33]
	v_add_f64 v[108:109], v[68:69], v[42:43]
	s_waitcnt vmcnt(0)
	v_mul_u32_u24_e32 v20, 17, v20
	s_delay_alu instid0(VALU_DEP_1)
	v_lshlrev_b32_e32 v20, 4, v20
	ds_store_b128 v20, v[76:79]
	ds_store_b128 v20, v[8:11] offset:16
	ds_store_b128 v20, v[96:99] offset:32
	;; [unrolled: 1-line block ×16, first 2 shown]
.LBB0_13:
	s_or_b32 exec_lo, exec_lo, s33
	s_waitcnt lgkmcnt(0)
	s_barrier
	buffer_gl0_inv
	s_clause 0x2
	scratch_load_b128 v[6:9], off, off offset:68
	scratch_load_b128 v[10:13], off, off offset:52
	;; [unrolled: 1-line block ×3, first 2 shown]
	ds_load_b128 v[0:3], v252 offset:8976
	s_mov_b32 s0, 0xe8584caa
	s_mov_b32 s1, 0xbfebb67a
	;; [unrolled: 1-line block ×34, first 2 shown]
	s_waitcnt vmcnt(2) lgkmcnt(0)
	v_mul_f64 v[4:5], v[8:9], v[2:3]
	s_delay_alu instid0(VALU_DEP_1) | instskip(SKIP_1) | instid1(VALU_DEP_1)
	v_fma_f64 v[4:5], v[6:7], v[0:1], v[4:5]
	v_mul_f64 v[0:1], v[8:9], v[0:1]
	v_fma_f64 v[6:7], v[6:7], v[2:3], -v[0:1]
	ds_load_b128 v[0:3], v252 offset:17952
	s_waitcnt vmcnt(1) lgkmcnt(0)
	v_mul_f64 v[8:9], v[12:13], v[2:3]
	s_delay_alu instid0(VALU_DEP_1) | instskip(SKIP_1) | instid1(VALU_DEP_1)
	v_fma_f64 v[8:9], v[10:11], v[0:1], v[8:9]
	v_mul_f64 v[0:1], v[12:13], v[0:1]
	v_fma_f64 v[10:11], v[10:11], v[2:3], -v[0:1]
	ds_load_b128 v[0:3], v252 offset:9792
	s_waitcnt vmcnt(0) lgkmcnt(0)
	v_mul_f64 v[12:13], v[16:17], v[2:3]
	s_delay_alu instid0(VALU_DEP_1) | instskip(SKIP_1) | instid1(VALU_DEP_1)
	v_fma_f64 v[20:21], v[14:15], v[0:1], v[12:13]
	v_mul_f64 v[0:1], v[16:17], v[0:1]
	v_fma_f64 v[22:23], v[14:15], v[2:3], -v[0:1]
	scratch_load_b128 v[14:17], off, off offset:20 ; 16-byte Folded Reload
	ds_load_b128 v[0:3], v252 offset:18768
	s_waitcnt vmcnt(0) lgkmcnt(0)
	v_mul_f64 v[12:13], v[16:17], v[2:3]
	s_delay_alu instid0(VALU_DEP_1) | instskip(SKIP_1) | instid1(VALU_DEP_1)
	v_fma_f64 v[24:25], v[14:15], v[0:1], v[12:13]
	v_mul_f64 v[0:1], v[16:17], v[0:1]
	v_fma_f64 v[26:27], v[14:15], v[2:3], -v[0:1]
	scratch_load_b128 v[14:17], off, off offset:100 ; 16-byte Folded Reload
	;; [unrolled: 8-line block ×19, first 2 shown]
	ds_load_b128 v[0:3], v252 offset:26112
	s_waitcnt vmcnt(0) lgkmcnt(0)
	v_mul_f64 v[12:13], v[16:17], v[2:3]
	s_delay_alu instid0(VALU_DEP_1) | instskip(SKIP_2) | instid1(VALU_DEP_2)
	v_fma_f64 v[84:85], v[14:15], v[0:1], v[12:13]
	v_mul_f64 v[0:1], v[16:17], v[0:1]
	v_add_f64 v[12:13], v[4:5], v[8:9]
	v_fma_f64 v[86:87], v[14:15], v[2:3], -v[0:1]
	v_add_f64 v[14:15], v[6:7], v[10:11]
	ds_load_b128 v[0:3], v252
	s_waitcnt lgkmcnt(0)
	v_fma_f64 v[12:13], v[12:13], -0.5, v[0:1]
	v_add_f64 v[0:1], v[0:1], v[4:5]
	v_fma_f64 v[14:15], v[14:15], -0.5, v[2:3]
	v_add_f64 v[2:3], v[2:3], v[6:7]
	v_add_f64 v[6:7], v[6:7], -v[10:11]
	s_delay_alu instid0(VALU_DEP_4) | instskip(NEXT) | instid1(VALU_DEP_3)
	v_add_f64 v[0:1], v[0:1], v[8:9]
	v_add_f64 v[2:3], v[2:3], v[10:11]
	v_add_f64 v[10:11], v[4:5], -v[8:9]
	s_delay_alu instid0(VALU_DEP_4) | instskip(SKIP_1) | instid1(VALU_DEP_3)
	v_fma_f64 v[4:5], v[6:7], s[0:1], v[12:13]
	v_fma_f64 v[8:9], v[6:7], s[2:3], v[12:13]
	;; [unrolled: 1-line block ×4, first 2 shown]
	ds_load_b128 v[72:75], v252 offset:8160
	ds_load_b128 v[12:15], v252 offset:816
	;; [unrolled: 1-line block ×10, first 2 shown]
	s_waitcnt lgkmcnt(0)
	s_barrier
	buffer_gl0_inv
	scratch_load_b32 v52, off, off offset:1068 ; 4-byte Folded Reload
	s_waitcnt vmcnt(0)
	ds_store_b128 v52, v[0:3]
	ds_store_b128 v52, v[4:7] offset:272
	ds_store_b128 v52, v[8:11] offset:544
	v_add_f64 v[0:1], v[20:21], v[24:25]
	v_add_f64 v[4:5], v[12:13], v[20:21]
	v_add_f64 v[8:9], v[22:23], -v[26:27]
	s_delay_alu instid0(VALU_DEP_3) | instskip(SKIP_2) | instid1(VALU_DEP_2)
	v_fma_f64 v[6:7], v[0:1], -0.5, v[12:13]
	v_add_f64 v[0:1], v[22:23], v[26:27]
	v_add_f64 v[12:13], v[20:21], -v[24:25]
	v_fma_f64 v[10:11], v[0:1], -0.5, v[14:15]
	v_add_f64 v[0:1], v[14:15], v[22:23]
	s_delay_alu instid0(VALU_DEP_1)
	v_add_f64 v[2:3], v[0:1], v[26:27]
	v_add_f64 v[0:1], v[4:5], v[24:25]
	v_fma_f64 v[4:5], v[8:9], s[0:1], v[6:7]
	v_fma_f64 v[8:9], v[8:9], s[2:3], v[6:7]
	v_fma_f64 v[6:7], v[12:13], s[2:3], v[10:11]
	v_fma_f64 v[10:11], v[12:13], s[0:1], v[10:11]
	scratch_load_b32 v12, off, off offset:1360 ; 4-byte Folded Reload
	s_waitcnt vmcnt(0)
	ds_store_b128 v12, v[0:3]
	ds_store_b128 v12, v[4:7] offset:272
	ds_store_b128 v12, v[8:11] offset:544
	v_add_f64 v[0:1], v[28:29], v[32:33]
	v_add_f64 v[4:5], v[16:17], v[28:29]
	v_add_f64 v[8:9], v[30:31], -v[34:35]
	v_add_f64 v[12:13], v[28:29], -v[32:33]
	s_delay_alu instid0(VALU_DEP_4) | instskip(SKIP_1) | instid1(VALU_DEP_1)
	v_fma_f64 v[6:7], v[0:1], -0.5, v[16:17]
	v_add_f64 v[0:1], v[30:31], v[34:35]
	v_fma_f64 v[10:11], v[0:1], -0.5, v[18:19]
	v_add_f64 v[0:1], v[18:19], v[30:31]
	s_delay_alu instid0(VALU_DEP_1)
	v_add_f64 v[2:3], v[0:1], v[34:35]
	v_add_f64 v[0:1], v[4:5], v[32:33]
	v_fma_f64 v[4:5], v[8:9], s[0:1], v[6:7]
	v_fma_f64 v[8:9], v[8:9], s[2:3], v[6:7]
	v_fma_f64 v[6:7], v[12:13], s[2:3], v[10:11]
	v_fma_f64 v[10:11], v[12:13], s[0:1], v[10:11]
	scratch_load_b32 v12, off, off offset:1212 ; 4-byte Folded Reload
	s_waitcnt vmcnt(0)
	ds_store_b128 v12, v[0:3]
	ds_store_b128 v12, v[4:7] offset:272
	ds_store_b128 v12, v[8:11] offset:544
	v_add_f64 v[0:1], v[36:37], v[40:41]
	v_add_f64 v[4:5], v[168:169], v[36:37]
	v_add_f64 v[8:9], v[38:39], -v[42:43]
	v_add_f64 v[12:13], v[36:37], -v[40:41]
	s_delay_alu instid0(VALU_DEP_4) | instskip(SKIP_1) | instid1(VALU_DEP_1)
	v_fma_f64 v[6:7], v[0:1], -0.5, v[168:169]
	v_add_f64 v[0:1], v[38:39], v[42:43]
	;; [unrolled: 21-line block ×9, first 2 shown]
	v_fma_f64 v[10:11], v[0:1], -0.5, v[74:75]
	v_add_f64 v[0:1], v[74:75], v[82:83]
	s_delay_alu instid0(VALU_DEP_1)
	v_add_f64 v[2:3], v[0:1], v[86:87]
	v_add_f64 v[0:1], v[4:5], v[84:85]
	v_fma_f64 v[4:5], v[8:9], s[0:1], v[6:7]
	v_fma_f64 v[8:9], v[8:9], s[2:3], v[6:7]
	;; [unrolled: 1-line block ×4, first 2 shown]
	scratch_load_b32 v12, off, off offset:1032 ; 4-byte Folded Reload
	s_waitcnt vmcnt(0)
	ds_store_b128 v12, v[0:3]
	ds_store_b128 v12, v[4:7] offset:272
	ds_store_b128 v12, v[8:11] offset:544
	s_waitcnt lgkmcnt(0)
	s_barrier
	buffer_gl0_inv
	s_clause 0x1
	scratch_load_b128 v[10:13], off, off offset:532
	scratch_load_b128 v[22:25], off, off offset:548
	ds_load_b128 v[0:3], v252 offset:2448
	s_clause 0x1
	scratch_load_b128 v[14:17], off, off offset:580
	scratch_load_b128 v[18:21], off, off offset:564
	s_waitcnt vmcnt(3) lgkmcnt(0)
	v_mul_f64 v[4:5], v[12:13], v[2:3]
	s_delay_alu instid0(VALU_DEP_1) | instskip(SKIP_1) | instid1(VALU_DEP_1)
	v_fma_f64 v[4:5], v[10:11], v[0:1], v[4:5]
	v_mul_f64 v[0:1], v[12:13], v[0:1]
	v_fma_f64 v[6:7], v[10:11], v[2:3], -v[0:1]
	ds_load_b128 v[0:3], v252 offset:3264
	s_waitcnt lgkmcnt(0)
	v_mul_f64 v[8:9], v[12:13], v[2:3]
	s_delay_alu instid0(VALU_DEP_1) | instskip(SKIP_1) | instid1(VALU_DEP_1)
	v_fma_f64 v[204:205], v[10:11], v[0:1], v[8:9]
	v_mul_f64 v[0:1], v[12:13], v[0:1]
	v_fma_f64 v[206:207], v[10:11], v[2:3], -v[0:1]
	scratch_load_b128 v[10:13], off, off offset:644 ; 16-byte Folded Reload
	ds_load_b128 v[0:3], v252 offset:4896
	s_waitcnt vmcnt(0) lgkmcnt(0)
	v_mul_f64 v[8:9], v[12:13], v[2:3]
	s_delay_alu instid0(VALU_DEP_1) | instskip(SKIP_1) | instid1(VALU_DEP_1)
	v_fma_f64 v[80:81], v[10:11], v[0:1], v[8:9]
	v_mul_f64 v[0:1], v[12:13], v[0:1]
	v_fma_f64 v[82:83], v[10:11], v[2:3], -v[0:1]
	ds_load_b128 v[0:3], v252 offset:5712
	s_waitcnt lgkmcnt(0)
	v_mul_f64 v[8:9], v[12:13], v[2:3]
	s_delay_alu instid0(VALU_DEP_1) | instskip(SKIP_1) | instid1(VALU_DEP_1)
	v_fma_f64 v[160:161], v[10:11], v[0:1], v[8:9]
	v_mul_f64 v[0:1], v[12:13], v[0:1]
	v_fma_f64 v[162:163], v[10:11], v[2:3], -v[0:1]
	scratch_load_b128 v[10:13], off, off offset:612 ; 16-byte Folded Reload
	ds_load_b128 v[0:3], v252 offset:7344
	;; [unrolled: 15-line block ×5, first 2 shown]
	s_waitcnt vmcnt(0) lgkmcnt(0)
	v_mul_f64 v[8:9], v[12:13], v[2:3]
	s_delay_alu instid0(VALU_DEP_1) | instskip(SKIP_1) | instid1(VALU_DEP_2)
	v_fma_f64 v[96:97], v[10:11], v[0:1], v[8:9]
	v_mul_f64 v[0:1], v[12:13], v[0:1]
	v_add_f64 v[148:149], v[92:93], v[96:97]
	s_delay_alu instid0(VALU_DEP_2)
	v_fma_f64 v[98:99], v[10:11], v[2:3], -v[0:1]
	ds_load_b128 v[0:3], v252 offset:15504
	v_add_f64 v[154:155], v[92:93], -v[96:97]
	s_waitcnt lgkmcnt(0)
	v_mul_f64 v[8:9], v[12:13], v[2:3]
	v_add_f64 v[122:123], v[94:95], -v[98:99]
	s_delay_alu instid0(VALU_DEP_2) | instskip(SKIP_1) | instid1(VALU_DEP_3)
	v_fma_f64 v[144:145], v[10:11], v[0:1], v[8:9]
	v_mul_f64 v[0:1], v[12:13], v[0:1]
	v_mul_f64 v[150:151], v[122:123], s[22:23]
	s_delay_alu instid0(VALU_DEP_2) | instskip(SKIP_4) | instid1(VALU_DEP_1)
	v_fma_f64 v[140:141], v[10:11], v[2:3], -v[0:1]
	scratch_load_b128 v[10:13], off, off offset:596 ; 16-byte Folded Reload
	ds_load_b128 v[0:3], v252 offset:17136
	s_waitcnt vmcnt(0) lgkmcnt(0)
	v_mul_f64 v[8:9], v[12:13], v[2:3]
	v_fma_f64 v[100:101], v[10:11], v[0:1], v[8:9]
	v_mul_f64 v[0:1], v[12:13], v[0:1]
	s_delay_alu instid0(VALU_DEP_2) | instskip(NEXT) | instid1(VALU_DEP_2)
	v_add_f64 v[114:115], v[88:89], v[100:101]
	v_fma_f64 v[102:103], v[10:11], v[2:3], -v[0:1]
	ds_load_b128 v[0:3], v252 offset:17952
	v_add_f64 v[118:119], v[88:89], -v[100:101]
	s_waitcnt lgkmcnt(0)
	v_mul_f64 v[8:9], v[12:13], v[2:3]
	v_add_f64 v[110:111], v[90:91], -v[102:103]
	v_add_f64 v[116:117], v[90:91], v[102:103]
	s_delay_alu instid0(VALU_DEP_3) | instskip(SKIP_1) | instid1(VALU_DEP_4)
	v_fma_f64 v[142:143], v[10:11], v[0:1], v[8:9]
	v_mul_f64 v[0:1], v[12:13], v[0:1]
	v_mul_f64 v[104:105], v[110:111], s[20:21]
	s_delay_alu instid0(VALU_DEP_4) | instskip(NEXT) | instid1(VALU_DEP_3)
	v_mul_f64 v[106:107], v[116:117], s[28:29]
	v_fma_f64 v[132:133], v[10:11], v[2:3], -v[0:1]
	ds_load_b128 v[0:3], v252 offset:19584
	s_waitcnt lgkmcnt(0)
	v_mul_f64 v[8:9], v[16:17], v[2:3]
	s_delay_alu instid0(VALU_DEP_1) | instskip(SKIP_1) | instid1(VALU_DEP_2)
	v_fma_f64 v[8:9], v[14:15], v[0:1], v[8:9]
	v_mul_f64 v[0:1], v[16:17], v[0:1]
	v_add_f64 v[70:71], v[84:85], v[8:9]
	s_delay_alu instid0(VALU_DEP_2)
	v_fma_f64 v[10:11], v[14:15], v[2:3], -v[0:1]
	ds_load_b128 v[0:3], v252 offset:20400
	v_add_f64 v[112:113], v[84:85], -v[8:9]
	s_waitcnt lgkmcnt(0)
	v_mul_f64 v[12:13], v[16:17], v[2:3]
	v_add_f64 v[108:109], v[86:87], v[10:11]
	s_delay_alu instid0(VALU_DEP_2) | instskip(SKIP_1) | instid1(VALU_DEP_1)
	v_fma_f64 v[134:135], v[14:15], v[0:1], v[12:13]
	v_mul_f64 v[0:1], v[16:17], v[0:1]
	v_fma_f64 v[128:129], v[14:15], v[2:3], -v[0:1]
	ds_load_b128 v[0:3], v252 offset:22032
	s_waitcnt lgkmcnt(0)
	v_mul_f64 v[12:13], v[20:21], v[2:3]
	s_delay_alu instid0(VALU_DEP_1) | instskip(SKIP_1) | instid1(VALU_DEP_2)
	v_fma_f64 v[12:13], v[18:19], v[0:1], v[12:13]
	v_mul_f64 v[0:1], v[20:21], v[0:1]
	v_add_f64 v[64:65], v[80:81], -v[12:13]
	s_delay_alu instid0(VALU_DEP_2) | instskip(SKIP_3) | instid1(VALU_DEP_1)
	v_fma_f64 v[14:15], v[18:19], v[2:3], -v[0:1]
	ds_load_b128 v[0:3], v252 offset:22848
	s_waitcnt lgkmcnt(0)
	v_mul_f64 v[16:17], v[20:21], v[2:3]
	v_fma_f64 v[130:131], v[18:19], v[0:1], v[16:17]
	v_mul_f64 v[0:1], v[20:21], v[0:1]
	s_delay_alu instid0(VALU_DEP_1) | instskip(SKIP_3) | instid1(VALU_DEP_1)
	v_fma_f64 v[124:125], v[18:19], v[2:3], -v[0:1]
	ds_load_b128 v[0:3], v252 offset:24480
	s_waitcnt lgkmcnt(0)
	v_mul_f64 v[16:17], v[24:25], v[2:3]
	v_fma_f64 v[16:17], v[22:23], v[0:1], v[16:17]
	v_mul_f64 v[0:1], v[24:25], v[0:1]
	s_delay_alu instid0(VALU_DEP_2) | instskip(NEXT) | instid1(VALU_DEP_2)
	v_add_f64 v[26:27], v[4:5], v[16:17]
	v_fma_f64 v[18:19], v[22:23], v[2:3], -v[0:1]
	ds_load_b128 v[0:3], v252 offset:25296
	v_add_f64 v[46:47], v[4:5], -v[16:17]
	s_waitcnt lgkmcnt(0)
	v_mul_f64 v[20:21], v[24:25], v[2:3]
	s_delay_alu instid0(VALU_DEP_1) | instskip(SKIP_1) | instid1(VALU_DEP_1)
	v_fma_f64 v[126:127], v[22:23], v[0:1], v[20:21]
	v_mul_f64 v[0:1], v[24:25], v[0:1]
	v_fma_f64 v[120:121], v[22:23], v[2:3], -v[0:1]
	scratch_load_b128 v[22:25], off, off offset:740 ; 16-byte Folded Reload
	ds_load_b128 v[0:3], v252 offset:4080
	s_waitcnt vmcnt(0) lgkmcnt(0)
	v_mul_f64 v[20:21], v[24:25], v[2:3]
	s_delay_alu instid0(VALU_DEP_1) | instskip(SKIP_1) | instid1(VALU_DEP_1)
	v_fma_f64 v[196:197], v[22:23], v[0:1], v[20:21]
	v_mul_f64 v[0:1], v[24:25], v[0:1]
	v_fma_f64 v[198:199], v[22:23], v[2:3], -v[0:1]
	scratch_load_b128 v[22:25], off, off offset:788 ; 16-byte Folded Reload
	ds_load_b128 v[0:3], v252 offset:6528
	s_waitcnt vmcnt(0) lgkmcnt(0)
	;; [unrolled: 8-line block ×10, first 2 shown]
	v_mul_f64 v[20:21], v[24:25], v[2:3]
	s_delay_alu instid0(VALU_DEP_1) | instskip(SKIP_1) | instid1(VALU_DEP_1)
	v_fma_f64 v[200:201], v[22:23], v[0:1], v[20:21]
	v_mul_f64 v[0:1], v[24:25], v[0:1]
	v_fma_f64 v[202:203], v[22:23], v[2:3], -v[0:1]
	v_add_f64 v[0:1], v[6:7], -v[18:19]
	s_delay_alu instid0(VALU_DEP_1)
	v_mul_f64 v[2:3], v[0:1], s[18:19]
	v_mul_f64 v[20:21], v[0:1], s[8:9]
	;; [unrolled: 1-line block ×5, first 2 shown]
	v_fma_f64 v[28:29], v[26:27], s[14:15], v[2:3]
	v_fma_f64 v[30:31], v[26:27], s[14:15], -v[2:3]
	v_fma_f64 v[32:33], v[26:27], s[30:31], v[20:21]
	v_fma_f64 v[20:21], v[26:27], s[30:31], -v[20:21]
	v_fma_f64 v[34:35], v[26:27], s[26:27], v[22:23]
	v_fma_f64 v[22:23], v[26:27], s[26:27], -v[22:23]
	v_fma_f64 v[36:37], v[26:27], s[28:29], v[24:25]
	v_fma_f64 v[24:25], v[26:27], s[28:29], -v[24:25]
	v_fma_f64 v[38:39], v[26:27], s[24:25], v[0:1]
	v_fma_f64 v[26:27], v[26:27], s[24:25], -v[0:1]
	v_add_f64 v[0:1], v[6:7], v[18:19]
	s_delay_alu instid0(VALU_DEP_1)
	v_mul_f64 v[2:3], v[0:1], s[14:15]
	v_mul_f64 v[40:41], v[0:1], s[30:31]
	v_mul_f64 v[42:43], v[0:1], s[26:27]
	v_mul_f64 v[44:45], v[0:1], s[28:29]
	v_mul_f64 v[0:1], v[0:1], s[24:25]
	v_fma_f64 v[48:49], v[46:47], s[34:35], v[2:3]
	v_fma_f64 v[50:51], v[46:47], s[18:19], v[2:3]
	;; [unrolled: 1-line block ×10, first 2 shown]
	ds_load_b128 v[0:3], v252
	s_waitcnt lgkmcnt(0)
	v_add_f64 v[4:5], v[0:1], v[4:5]
	v_add_f64 v[28:29], v[0:1], v[28:29]
	v_add_f64 v[30:31], v[0:1], v[30:31]
	v_add_f64 v[32:33], v[0:1], v[32:33]
	v_add_f64 v[20:21], v[0:1], v[20:21]
	v_add_f64 v[34:35], v[0:1], v[34:35]
	v_add_f64 v[22:23], v[0:1], v[22:23]
	v_add_f64 v[36:37], v[0:1], v[36:37]
	v_add_f64 v[24:25], v[0:1], v[24:25]
	v_add_f64 v[38:39], v[0:1], v[38:39]
	v_add_f64 v[0:1], v[0:1], v[26:27]
	v_add_f64 v[26:27], v[82:83], -v[14:15]
	v_add_f64 v[6:7], v[2:3], v[6:7]
	v_add_f64 v[48:49], v[2:3], v[48:49]
	;; [unrolled: 1-line block ×13, first 2 shown]
	v_mul_f64 v[60:61], v[26:27], s[8:9]
	v_add_f64 v[6:7], v[6:7], v[82:83]
	s_delay_alu instid0(VALU_DEP_3) | instskip(NEXT) | instid1(VALU_DEP_3)
	v_add_f64 v[4:5], v[4:5], v[84:85]
	v_fma_f64 v[62:63], v[46:47], s[30:31], v[60:61]
	s_delay_alu instid0(VALU_DEP_3) | instskip(NEXT) | instid1(VALU_DEP_3)
	v_add_f64 v[6:7], v[6:7], v[86:87]
	v_add_f64 v[4:5], v[4:5], v[88:89]
	s_delay_alu instid0(VALU_DEP_3) | instskip(SKIP_1) | instid1(VALU_DEP_4)
	v_add_f64 v[28:29], v[62:63], v[28:29]
	v_add_f64 v[62:63], v[82:83], v[14:15]
	;; [unrolled: 1-line block ×3, first 2 shown]
	s_delay_alu instid0(VALU_DEP_4) | instskip(NEXT) | instid1(VALU_DEP_3)
	v_add_f64 v[4:5], v[4:5], v[92:93]
	v_mul_f64 v[66:67], v[62:63], s[30:31]
	s_delay_alu instid0(VALU_DEP_3) | instskip(NEXT) | instid1(VALU_DEP_3)
	v_add_f64 v[6:7], v[6:7], v[94:95]
	v_add_f64 v[4:5], v[4:5], v[96:97]
	s_delay_alu instid0(VALU_DEP_3) | instskip(NEXT) | instid1(VALU_DEP_3)
	v_fma_f64 v[68:69], v[64:65], s[36:37], v[66:67]
	v_add_f64 v[6:7], v[6:7], v[98:99]
	s_delay_alu instid0(VALU_DEP_3) | instskip(NEXT) | instid1(VALU_DEP_3)
	v_add_f64 v[4:5], v[4:5], v[100:101]
	v_add_f64 v[48:49], v[68:69], v[48:49]
	v_add_f64 v[68:69], v[86:87], -v[10:11]
	s_delay_alu instid0(VALU_DEP_4) | instskip(NEXT) | instid1(VALU_DEP_4)
	v_add_f64 v[6:7], v[6:7], v[102:103]
	v_add_f64 v[4:5], v[4:5], v[8:9]
	v_mul_f64 v[8:9], v[62:63], s[28:29]
	s_delay_alu instid0(VALU_DEP_4) | instskip(NEXT) | instid1(VALU_DEP_4)
	v_mul_f64 v[72:73], v[68:69], s[16:17]
	v_add_f64 v[6:7], v[6:7], v[10:11]
	s_delay_alu instid0(VALU_DEP_4)
	v_add_f64 v[4:5], v[4:5], v[12:13]
	v_mul_f64 v[12:13], v[68:69], s[42:43]
	v_fma_f64 v[10:11], v[64:65], s[40:41], v[8:9]
	v_fma_f64 v[8:9], v[64:65], s[20:21], v[8:9]
	;; [unrolled: 1-line block ×3, first 2 shown]
	v_add_f64 v[6:7], v[6:7], v[14:15]
	v_add_f64 v[80:81], v[4:5], v[16:17]
	v_mul_f64 v[4:5], v[26:27], s[20:21]
	v_fma_f64 v[14:15], v[70:71], s[24:25], v[12:13]
	v_add_f64 v[10:11], v[10:11], v[52:53]
	v_add_f64 v[8:9], v[8:9], v[40:41]
	;; [unrolled: 1-line block ×3, first 2 shown]
	v_mul_f64 v[74:75], v[108:109], s[26:27]
	v_add_f64 v[82:83], v[6:7], v[18:19]
	v_fma_f64 v[6:7], v[46:47], s[28:29], v[4:5]
	v_fma_f64 v[4:5], v[46:47], s[28:29], -v[4:5]
	s_delay_alu instid0(VALU_DEP_4) | instskip(NEXT) | instid1(VALU_DEP_3)
	v_fma_f64 v[76:77], v[112:113], s[38:39], v[74:75]
	v_add_f64 v[6:7], v[6:7], v[32:33]
	s_delay_alu instid0(VALU_DEP_3) | instskip(NEXT) | instid1(VALU_DEP_3)
	v_add_f64 v[4:5], v[4:5], v[20:21]
	v_add_f64 v[48:49], v[76:77], v[48:49]
	v_fma_f64 v[76:77], v[114:115], s[28:29], v[104:105]
	s_delay_alu instid0(VALU_DEP_4) | instskip(SKIP_1) | instid1(VALU_DEP_3)
	v_add_f64 v[6:7], v[14:15], v[6:7]
	v_mul_f64 v[14:15], v[108:109], s[24:25]
	v_add_f64 v[28:29], v[76:77], v[28:29]
	v_fma_f64 v[76:77], v[118:119], s[40:41], v[106:107]
	s_delay_alu instid0(VALU_DEP_3) | instskip(NEXT) | instid1(VALU_DEP_2)
	v_fma_f64 v[16:17], v[112:113], s[22:23], v[14:15]
	v_add_f64 v[48:49], v[76:77], v[48:49]
	v_fma_f64 v[76:77], v[148:149], s[24:25], v[150:151]
	s_delay_alu instid0(VALU_DEP_3) | instskip(SKIP_1) | instid1(VALU_DEP_3)
	v_add_f64 v[10:11], v[16:17], v[10:11]
	v_mul_f64 v[16:17], v[110:111], s[38:39]
	v_add_f64 v[76:77], v[76:77], v[28:29]
	v_add_f64 v[28:29], v[94:95], v[98:99]
	s_delay_alu instid0(VALU_DEP_3) | instskip(NEXT) | instid1(VALU_DEP_2)
	v_fma_f64 v[18:19], v[114:115], s[26:27], v[16:17]
	v_mul_f64 v[208:209], v[28:29], s[24:25]
	s_delay_alu instid0(VALU_DEP_2) | instskip(SKIP_1) | instid1(VALU_DEP_3)
	v_add_f64 v[6:7], v[18:19], v[6:7]
	v_mul_f64 v[18:19], v[116:117], s[26:27]
	v_fma_f64 v[78:79], v[154:155], s[42:43], v[208:209]
	s_delay_alu instid0(VALU_DEP_1) | instskip(SKIP_2) | instid1(VALU_DEP_2)
	v_add_f64 v[78:79], v[78:79], v[48:49]
	v_fma_f64 v[48:49], v[46:47], s[30:31], -v[60:61]
	v_fma_f64 v[60:61], v[154:155], s[22:23], v[208:209]
	v_add_f64 v[30:31], v[48:49], v[30:31]
	v_fma_f64 v[48:49], v[64:65], s[8:9], v[66:67]
	v_add_f64 v[66:67], v[152:153], v[132:133]
	s_delay_alu instid0(VALU_DEP_2) | instskip(SKIP_1) | instid1(VALU_DEP_1)
	v_add_f64 v[48:49], v[48:49], v[50:51]
	v_fma_f64 v[50:51], v[70:71], s[26:27], -v[72:73]
	v_add_f64 v[30:31], v[50:51], v[30:31]
	v_fma_f64 v[50:51], v[112:113], s[16:17], v[74:75]
	s_delay_alu instid0(VALU_DEP_1) | instskip(SKIP_1) | instid1(VALU_DEP_1)
	v_add_f64 v[48:49], v[50:51], v[48:49]
	v_fma_f64 v[50:51], v[114:115], s[28:29], -v[104:105]
	v_add_f64 v[30:31], v[50:51], v[30:31]
	v_fma_f64 v[50:51], v[118:119], s[20:21], v[106:107]
	s_delay_alu instid0(VALU_DEP_1) | instskip(SKIP_1) | instid1(VALU_DEP_2)
	v_add_f64 v[48:49], v[50:51], v[48:49]
	v_fma_f64 v[50:51], v[148:149], s[24:25], -v[150:151]
	v_add_f64 v[74:75], v[60:61], v[48:49]
	s_delay_alu instid0(VALU_DEP_2) | instskip(SKIP_1) | instid1(VALU_DEP_1)
	v_add_f64 v[72:73], v[50:51], v[30:31]
	v_fma_f64 v[30:31], v[118:119], s[16:17], v[18:19]
	v_add_f64 v[10:11], v[30:31], v[10:11]
	v_mul_f64 v[30:31], v[122:123], s[34:35]
	s_delay_alu instid0(VALU_DEP_1) | instskip(NEXT) | instid1(VALU_DEP_1)
	v_fma_f64 v[32:33], v[148:149], s[14:15], v[30:31]
	v_add_f64 v[88:89], v[32:33], v[6:7]
	v_mul_f64 v[6:7], v[28:29], s[14:15]
	s_delay_alu instid0(VALU_DEP_1) | instskip(SKIP_1) | instid1(VALU_DEP_2)
	v_fma_f64 v[32:33], v[154:155], s[18:19], v[6:7]
	v_fma_f64 v[6:7], v[154:155], s[34:35], v[6:7]
	v_add_f64 v[90:91], v[32:33], v[10:11]
	v_fma_f64 v[10:11], v[70:71], s[24:25], -v[12:13]
	v_mul_f64 v[12:13], v[68:69], s[36:37]
	s_delay_alu instid0(VALU_DEP_2) | instskip(SKIP_1) | instid1(VALU_DEP_3)
	v_add_f64 v[4:5], v[10:11], v[4:5]
	v_fma_f64 v[10:11], v[112:113], s[42:43], v[14:15]
	v_fma_f64 v[14:15], v[70:71], s[30:31], v[12:13]
	s_delay_alu instid0(VALU_DEP_2) | instskip(SKIP_1) | instid1(VALU_DEP_1)
	v_add_f64 v[8:9], v[10:11], v[8:9]
	v_fma_f64 v[10:11], v[114:115], s[26:27], -v[16:17]
	v_add_f64 v[4:5], v[10:11], v[4:5]
	v_fma_f64 v[10:11], v[118:119], s[38:39], v[18:19]
	s_delay_alu instid0(VALU_DEP_1) | instskip(SKIP_1) | instid1(VALU_DEP_2)
	v_add_f64 v[8:9], v[10:11], v[8:9]
	v_fma_f64 v[10:11], v[148:149], s[14:15], -v[30:31]
	v_add_f64 v[86:87], v[6:7], v[8:9]
	s_delay_alu instid0(VALU_DEP_2) | instskip(SKIP_2) | instid1(VALU_DEP_2)
	v_add_f64 v[84:85], v[10:11], v[4:5]
	v_mul_f64 v[4:5], v[26:27], s[42:43]
	v_mul_f64 v[8:9], v[62:63], s[24:25]
	v_fma_f64 v[6:7], v[46:47], s[24:25], v[4:5]
	s_delay_alu instid0(VALU_DEP_2) | instskip(SKIP_2) | instid1(VALU_DEP_4)
	v_fma_f64 v[10:11], v[64:65], s[22:23], v[8:9]
	v_fma_f64 v[4:5], v[46:47], s[24:25], -v[4:5]
	v_fma_f64 v[8:9], v[64:65], s[42:43], v[8:9]
	v_add_f64 v[6:7], v[6:7], v[34:35]
	s_delay_alu instid0(VALU_DEP_4) | instskip(NEXT) | instid1(VALU_DEP_4)
	v_add_f64 v[10:11], v[10:11], v[54:55]
	v_add_f64 v[4:5], v[4:5], v[22:23]
	s_delay_alu instid0(VALU_DEP_4) | instskip(SKIP_3) | instid1(VALU_DEP_1)
	v_add_f64 v[8:9], v[8:9], v[42:43]
	v_add_f64 v[54:55], v[158:159], v[128:129]
	;; [unrolled: 1-line block ×3, first 2 shown]
	v_mul_f64 v[14:15], v[108:109], s[30:31]
	v_fma_f64 v[16:17], v[112:113], s[8:9], v[14:15]
	s_delay_alu instid0(VALU_DEP_1) | instskip(SKIP_1) | instid1(VALU_DEP_1)
	v_add_f64 v[10:11], v[16:17], v[10:11]
	v_mul_f64 v[16:17], v[110:111], s[18:19]
	v_fma_f64 v[18:19], v[114:115], s[14:15], v[16:17]
	s_delay_alu instid0(VALU_DEP_1) | instskip(SKIP_1) | instid1(VALU_DEP_1)
	v_add_f64 v[6:7], v[18:19], v[6:7]
	v_mul_f64 v[18:19], v[116:117], s[14:15]
	v_fma_f64 v[20:21], v[118:119], s[34:35], v[18:19]
	s_delay_alu instid0(VALU_DEP_1) | instskip(SKIP_1) | instid1(VALU_DEP_1)
	v_add_f64 v[10:11], v[20:21], v[10:11]
	v_mul_f64 v[20:21], v[122:123], s[20:21]
	v_fma_f64 v[30:31], v[148:149], s[28:29], v[20:21]
	s_delay_alu instid0(VALU_DEP_1) | instskip(SKIP_1) | instid1(VALU_DEP_1)
	v_add_f64 v[96:97], v[30:31], v[6:7]
	v_mul_f64 v[6:7], v[28:29], s[28:29]
	v_fma_f64 v[30:31], v[154:155], s[40:41], v[6:7]
	v_fma_f64 v[6:7], v[154:155], s[20:21], v[6:7]
	s_delay_alu instid0(VALU_DEP_2) | instskip(SKIP_2) | instid1(VALU_DEP_2)
	v_add_f64 v[98:99], v[30:31], v[10:11]
	v_fma_f64 v[10:11], v[70:71], s[30:31], -v[12:13]
	v_mul_f64 v[12:13], v[68:69], s[18:19]
	v_add_f64 v[4:5], v[10:11], v[4:5]
	v_fma_f64 v[10:11], v[112:113], s[36:37], v[14:15]
	s_delay_alu instid0(VALU_DEP_3) | instskip(NEXT) | instid1(VALU_DEP_2)
	v_fma_f64 v[14:15], v[70:71], s[14:15], v[12:13]
	v_add_f64 v[8:9], v[10:11], v[8:9]
	v_fma_f64 v[10:11], v[114:115], s[14:15], -v[16:17]
	s_delay_alu instid0(VALU_DEP_1) | instskip(SKIP_1) | instid1(VALU_DEP_1)
	v_add_f64 v[4:5], v[10:11], v[4:5]
	v_fma_f64 v[10:11], v[118:119], s[18:19], v[18:19]
	v_add_f64 v[8:9], v[10:11], v[8:9]
	v_fma_f64 v[10:11], v[148:149], s[28:29], -v[20:21]
	s_delay_alu instid0(VALU_DEP_2) | instskip(NEXT) | instid1(VALU_DEP_2)
	v_add_f64 v[94:95], v[6:7], v[8:9]
	v_add_f64 v[92:93], v[10:11], v[4:5]
	v_mul_f64 v[4:5], v[26:27], s[38:39]
	v_mul_f64 v[8:9], v[62:63], s[26:27]
	s_delay_alu instid0(VALU_DEP_2) | instskip(NEXT) | instid1(VALU_DEP_2)
	v_fma_f64 v[6:7], v[46:47], s[26:27], v[4:5]
	v_fma_f64 v[10:11], v[64:65], s[16:17], v[8:9]
	v_fma_f64 v[4:5], v[46:47], s[26:27], -v[4:5]
	v_fma_f64 v[8:9], v[64:65], s[38:39], v[8:9]
	s_delay_alu instid0(VALU_DEP_4) | instskip(NEXT) | instid1(VALU_DEP_4)
	v_add_f64 v[6:7], v[6:7], v[36:37]
	v_add_f64 v[10:11], v[10:11], v[56:57]
	s_delay_alu instid0(VALU_DEP_4) | instskip(NEXT) | instid1(VALU_DEP_4)
	v_add_f64 v[4:5], v[4:5], v[24:25]
	v_add_f64 v[8:9], v[8:9], v[44:45]
	;; [unrolled: 1-line block ×4, first 2 shown]
	v_mul_f64 v[14:15], v[108:109], s[14:15]
	s_delay_alu instid0(VALU_DEP_1) | instskip(NEXT) | instid1(VALU_DEP_1)
	v_fma_f64 v[16:17], v[112:113], s[34:35], v[14:15]
	v_add_f64 v[10:11], v[16:17], v[10:11]
	v_mul_f64 v[16:17], v[110:111], s[22:23]
	s_delay_alu instid0(VALU_DEP_1) | instskip(NEXT) | instid1(VALU_DEP_1)
	v_fma_f64 v[18:19], v[114:115], s[24:25], v[16:17]
	v_add_f64 v[6:7], v[18:19], v[6:7]
	v_mul_f64 v[18:19], v[116:117], s[24:25]
	s_delay_alu instid0(VALU_DEP_1) | instskip(NEXT) | instid1(VALU_DEP_1)
	v_fma_f64 v[20:21], v[118:119], s[42:43], v[18:19]
	v_add_f64 v[10:11], v[20:21], v[10:11]
	v_mul_f64 v[20:21], v[122:123], s[36:37]
	s_delay_alu instid0(VALU_DEP_1) | instskip(NEXT) | instid1(VALU_DEP_1)
	v_fma_f64 v[22:23], v[148:149], s[30:31], v[20:21]
	v_add_f64 v[100:101], v[22:23], v[6:7]
	v_mul_f64 v[6:7], v[28:29], s[30:31]
	s_delay_alu instid0(VALU_DEP_1) | instskip(SKIP_1) | instid1(VALU_DEP_2)
	v_fma_f64 v[22:23], v[154:155], s[8:9], v[6:7]
	v_fma_f64 v[6:7], v[154:155], s[36:37], v[6:7]
	v_add_f64 v[102:103], v[22:23], v[10:11]
	v_fma_f64 v[10:11], v[70:71], s[14:15], -v[12:13]
	v_mul_f64 v[12:13], v[68:69], s[20:21]
	v_mul_f64 v[22:23], v[28:29], s[26:27]
	v_add_f64 v[68:69], v[146:147], v[142:143]
	s_delay_alu instid0(VALU_DEP_4) | instskip(SKIP_2) | instid1(VALU_DEP_2)
	v_add_f64 v[4:5], v[10:11], v[4:5]
	v_fma_f64 v[10:11], v[112:113], s[18:19], v[14:15]
	v_fma_f64 v[14:15], v[70:71], s[28:29], v[12:13]
	v_add_f64 v[8:9], v[10:11], v[8:9]
	v_fma_f64 v[10:11], v[114:115], s[24:25], -v[16:17]
	s_delay_alu instid0(VALU_DEP_1) | instskip(SKIP_1) | instid1(VALU_DEP_1)
	v_add_f64 v[4:5], v[10:11], v[4:5]
	v_fma_f64 v[10:11], v[118:119], s[22:23], v[18:19]
	v_add_f64 v[8:9], v[10:11], v[8:9]
	v_fma_f64 v[10:11], v[148:149], s[30:31], -v[20:21]
	s_delay_alu instid0(VALU_DEP_2) | instskip(NEXT) | instid1(VALU_DEP_2)
	v_add_f64 v[106:107], v[6:7], v[8:9]
	v_add_f64 v[104:105], v[10:11], v[4:5]
	v_mul_f64 v[4:5], v[26:27], s[34:35]
	v_mul_f64 v[8:9], v[62:63], s[14:15]
	s_delay_alu instid0(VALU_DEP_2) | instskip(NEXT) | instid1(VALU_DEP_2)
	v_fma_f64 v[6:7], v[46:47], s[14:15], v[4:5]
	v_fma_f64 v[10:11], v[64:65], s[18:19], v[8:9]
	v_fma_f64 v[4:5], v[46:47], s[14:15], -v[4:5]
	v_add_f64 v[46:47], v[160:161], -v[130:131]
	s_delay_alu instid0(VALU_DEP_4) | instskip(NEXT) | instid1(VALU_DEP_4)
	v_add_f64 v[6:7], v[6:7], v[38:39]
	v_add_f64 v[10:11], v[10:11], v[58:59]
	s_delay_alu instid0(VALU_DEP_4)
	v_add_f64 v[0:1], v[4:5], v[0:1]
	v_fma_f64 v[4:5], v[70:71], s[28:29], -v[12:13]
	v_add_f64 v[58:59], v[156:157], -v[134:135]
	v_add_f64 v[70:71], v[146:147], -v[142:143]
	v_add_f64 v[6:7], v[14:15], v[6:7]
	v_mul_f64 v[14:15], v[108:109], s[28:29]
	v_add_f64 v[0:1], v[4:5], v[0:1]
	s_delay_alu instid0(VALU_DEP_2) | instskip(NEXT) | instid1(VALU_DEP_1)
	v_fma_f64 v[16:17], v[112:113], s[40:41], v[14:15]
	v_add_f64 v[10:11], v[16:17], v[10:11]
	v_mul_f64 v[16:17], v[110:111], s[36:37]
	s_delay_alu instid0(VALU_DEP_1) | instskip(SKIP_1) | instid1(VALU_DEP_2)
	v_fma_f64 v[18:19], v[114:115], s[30:31], v[16:17]
	v_fma_f64 v[4:5], v[114:115], s[30:31], -v[16:17]
	v_add_f64 v[6:7], v[18:19], v[6:7]
	v_mul_f64 v[18:19], v[116:117], s[30:31]
	s_delay_alu instid0(VALU_DEP_3) | instskip(NEXT) | instid1(VALU_DEP_2)
	v_add_f64 v[0:1], v[4:5], v[0:1]
	v_fma_f64 v[20:21], v[118:119], s[8:9], v[18:19]
	s_delay_alu instid0(VALU_DEP_1) | instskip(SKIP_1) | instid1(VALU_DEP_1)
	v_add_f64 v[10:11], v[20:21], v[10:11]
	v_mul_f64 v[20:21], v[122:123], s[16:17]
	v_fma_f64 v[24:25], v[148:149], s[26:27], v[20:21]
	v_fma_f64 v[4:5], v[148:149], s[26:27], -v[20:21]
	s_delay_alu instid0(VALU_DEP_2) | instskip(SKIP_1) | instid1(VALU_DEP_3)
	v_add_f64 v[108:109], v[24:25], v[6:7]
	v_fma_f64 v[6:7], v[154:155], s[38:39], v[22:23]
	v_add_f64 v[116:117], v[4:5], v[0:1]
	s_delay_alu instid0(VALU_DEP_2) | instskip(SKIP_3) | instid1(VALU_DEP_3)
	v_add_f64 v[110:111], v[6:7], v[10:11]
	v_fma_f64 v[6:7], v[64:65], s[34:35], v[8:9]
	v_add_f64 v[8:9], v[204:205], v[126:127]
	v_add_f64 v[10:11], v[204:205], -v[126:127]
	v_add_f64 v[2:3], v[6:7], v[2:3]
	v_fma_f64 v[6:7], v[112:113], s[20:21], v[14:15]
	s_delay_alu instid0(VALU_DEP_1) | instskip(SKIP_1) | instid1(VALU_DEP_1)
	v_add_f64 v[2:3], v[6:7], v[2:3]
	v_fma_f64 v[6:7], v[118:119], s[36:37], v[18:19]
	v_add_f64 v[2:3], v[6:7], v[2:3]
	v_fma_f64 v[6:7], v[154:155], s[16:17], v[22:23]
	v_add_f64 v[154:155], v[138:139], v[140:141]
	s_delay_alu instid0(VALU_DEP_2) | instskip(SKIP_4) | instid1(VALU_DEP_2)
	v_add_f64 v[118:119], v[6:7], v[2:3]
	ds_load_b128 v[0:3], v252 offset:816
	s_waitcnt lgkmcnt(0)
	v_add_f64 v[4:5], v[0:1], v[204:205]
	v_add_f64 v[6:7], v[2:3], v[206:207]
	;; [unrolled: 1-line block ×3, first 2 shown]
	s_delay_alu instid0(VALU_DEP_2) | instskip(NEXT) | instid1(VALU_DEP_2)
	v_add_f64 v[6:7], v[6:7], v[162:163]
	v_add_f64 v[4:5], v[4:5], v[156:157]
	s_delay_alu instid0(VALU_DEP_2) | instskip(SKIP_1) | instid1(VALU_DEP_3)
	v_add_f64 v[6:7], v[6:7], v[158:159]
	v_add_f64 v[156:157], v[136:137], v[144:145]
	;; [unrolled: 1-line block ×3, first 2 shown]
	s_delay_alu instid0(VALU_DEP_3) | instskip(NEXT) | instid1(VALU_DEP_2)
	v_add_f64 v[6:7], v[6:7], v[152:153]
	v_add_f64 v[4:5], v[4:5], v[136:137]
	s_delay_alu instid0(VALU_DEP_2) | instskip(NEXT) | instid1(VALU_DEP_2)
	v_add_f64 v[6:7], v[6:7], v[138:139]
	v_add_f64 v[4:5], v[4:5], v[144:145]
	s_delay_alu instid0(VALU_DEP_2) | instskip(NEXT) | instid1(VALU_DEP_2)
	;; [unrolled: 3-line block ×5, first 2 shown]
	v_add_f64 v[6:7], v[6:7], v[124:125]
	v_add_f64 v[112:113], v[4:5], v[126:127]
	v_add_f64 v[4:5], v[206:207], -v[120:121]
	s_delay_alu instid0(VALU_DEP_3) | instskip(SKIP_1) | instid1(VALU_DEP_3)
	v_add_f64 v[114:115], v[6:7], v[120:121]
	v_add_f64 v[6:7], v[206:207], v[120:121]
	v_mul_f64 v[12:13], v[4:5], s[18:19]
	v_mul_f64 v[14:15], v[4:5], s[8:9]
	;; [unrolled: 1-line block ×8, first 2 shown]
	v_fma_f64 v[20:21], v[8:9], s[14:15], v[12:13]
	v_fma_f64 v[12:13], v[8:9], s[14:15], -v[12:13]
	v_fma_f64 v[22:23], v[8:9], s[30:31], v[14:15]
	v_fma_f64 v[14:15], v[8:9], s[30:31], -v[14:15]
	v_fma_f64 v[24:25], v[8:9], s[26:27], v[16:17]
	v_fma_f64 v[16:17], v[8:9], s[26:27], -v[16:17]
	v_fma_f64 v[26:27], v[8:9], s[28:29], v[18:19]
	v_fma_f64 v[18:19], v[8:9], s[28:29], -v[18:19]
	v_fma_f64 v[28:29], v[8:9], s[24:25], v[4:5]
	v_fma_f64 v[4:5], v[8:9], s[24:25], -v[4:5]
	v_mul_f64 v[8:9], v[6:7], s[14:15]
	v_mul_f64 v[6:7], v[6:7], s[24:25]
	v_fma_f64 v[38:39], v[10:11], s[36:37], v[30:31]
	v_fma_f64 v[30:31], v[10:11], s[8:9], v[30:31]
	;; [unrolled: 1-line block ×6, first 2 shown]
	v_add_f64 v[12:13], v[0:1], v[12:13]
	v_add_f64 v[22:23], v[0:1], v[22:23]
	;; [unrolled: 1-line block ×8, first 2 shown]
	v_fma_f64 v[36:37], v[10:11], s[34:35], v[8:9]
	v_fma_f64 v[8:9], v[10:11], s[18:19], v[8:9]
	;; [unrolled: 1-line block ×4, first 2 shown]
	v_add_f64 v[10:11], v[0:1], v[20:21]
	v_add_f64 v[0:1], v[0:1], v[4:5]
	v_add_f64 v[4:5], v[162:163], -v[124:125]
	v_add_f64 v[30:31], v[2:3], v[30:31]
	v_add_f64 v[32:33], v[2:3], v[32:33]
	;; [unrolled: 1-line block ×9, first 2 shown]
	v_mul_f64 v[48:49], v[4:5], s[8:9]
	v_add_f64 v[8:9], v[2:3], v[8:9]
	v_add_f64 v[2:3], v[2:3], v[6:7]
	;; [unrolled: 1-line block ×3, first 2 shown]
	s_delay_alu instid0(VALU_DEP_4) | instskip(NEXT) | instid1(VALU_DEP_1)
	v_fma_f64 v[50:51], v[44:45], s[30:31], v[48:49]
	v_add_f64 v[10:11], v[50:51], v[10:11]
	s_delay_alu instid0(VALU_DEP_3) | instskip(NEXT) | instid1(VALU_DEP_1)
	v_mul_f64 v[50:51], v[6:7], s[30:31]
	v_fma_f64 v[52:53], v[46:47], s[36:37], v[50:51]
	s_delay_alu instid0(VALU_DEP_1) | instskip(SKIP_2) | instid1(VALU_DEP_2)
	v_add_f64 v[20:21], v[52:53], v[20:21]
	v_add_f64 v[52:53], v[158:159], -v[128:129]
	v_add_f64 v[158:159], v[136:137], -v[144:145]
	v_mul_f64 v[60:61], v[52:53], s[16:17]
	s_delay_alu instid0(VALU_DEP_1) | instskip(NEXT) | instid1(VALU_DEP_1)
	v_fma_f64 v[62:63], v[56:57], s[26:27], v[60:61]
	v_add_f64 v[10:11], v[62:63], v[10:11]
	v_mul_f64 v[62:63], v[54:55], s[26:27]
	s_delay_alu instid0(VALU_DEP_1) | instskip(NEXT) | instid1(VALU_DEP_1)
	v_fma_f64 v[64:65], v[58:59], s[38:39], v[62:63]
	v_add_f64 v[20:21], v[64:65], v[20:21]
	v_add_f64 v[64:65], v[152:153], -v[132:133]
	v_add_f64 v[152:153], v[138:139], -v[140:141]
	s_delay_alu instid0(VALU_DEP_2) | instskip(NEXT) | instid1(VALU_DEP_2)
	v_mul_f64 v[120:121], v[64:65], s[20:21]
	v_mul_f64 v[128:129], v[152:153], s[22:23]
	s_delay_alu instid0(VALU_DEP_2) | instskip(NEXT) | instid1(VALU_DEP_1)
	v_fma_f64 v[122:123], v[68:69], s[28:29], v[120:121]
	v_add_f64 v[10:11], v[122:123], v[10:11]
	v_mul_f64 v[122:123], v[66:67], s[28:29]
	s_delay_alu instid0(VALU_DEP_1) | instskip(NEXT) | instid1(VALU_DEP_1)
	v_fma_f64 v[124:125], v[70:71], s[40:41], v[122:123]
	v_add_f64 v[20:21], v[124:125], v[20:21]
	v_fma_f64 v[124:125], v[156:157], s[24:25], v[128:129]
	s_delay_alu instid0(VALU_DEP_1) | instskip(SKIP_1) | instid1(VALU_DEP_1)
	v_add_f64 v[124:125], v[124:125], v[10:11]
	v_mul_f64 v[10:11], v[154:155], s[24:25]
	v_fma_f64 v[126:127], v[158:159], s[42:43], v[10:11]
	v_fma_f64 v[10:11], v[158:159], s[22:23], v[10:11]
	s_delay_alu instid0(VALU_DEP_2) | instskip(SKIP_1) | instid1(VALU_DEP_1)
	v_add_f64 v[126:127], v[126:127], v[20:21]
	v_fma_f64 v[20:21], v[44:45], s[30:31], -v[48:49]
	v_add_f64 v[12:13], v[20:21], v[12:13]
	v_fma_f64 v[20:21], v[46:47], s[8:9], v[50:51]
	s_delay_alu instid0(VALU_DEP_1) | instskip(SKIP_1) | instid1(VALU_DEP_1)
	v_add_f64 v[8:9], v[20:21], v[8:9]
	v_fma_f64 v[20:21], v[56:57], s[26:27], -v[60:61]
	v_add_f64 v[12:13], v[20:21], v[12:13]
	v_fma_f64 v[20:21], v[58:59], s[16:17], v[62:63]
	s_delay_alu instid0(VALU_DEP_1) | instskip(SKIP_1) | instid1(VALU_DEP_1)
	v_add_f64 v[8:9], v[20:21], v[8:9]
	v_fma_f64 v[20:21], v[68:69], s[28:29], -v[120:121]
	v_add_f64 v[12:13], v[20:21], v[12:13]
	v_fma_f64 v[20:21], v[70:71], s[20:21], v[122:123]
	s_delay_alu instid0(VALU_DEP_1) | instskip(SKIP_1) | instid1(VALU_DEP_2)
	v_add_f64 v[8:9], v[20:21], v[8:9]
	v_fma_f64 v[20:21], v[156:157], s[24:25], -v[128:129]
	v_add_f64 v[122:123], v[10:11], v[8:9]
	v_mul_f64 v[8:9], v[4:5], s[20:21]
	s_delay_alu instid0(VALU_DEP_3) | instskip(SKIP_1) | instid1(VALU_DEP_3)
	v_add_f64 v[120:121], v[20:21], v[12:13]
	v_mul_f64 v[12:13], v[6:7], s[28:29]
	v_fma_f64 v[10:11], v[44:45], s[28:29], v[8:9]
	v_fma_f64 v[8:9], v[44:45], s[28:29], -v[8:9]
	s_delay_alu instid0(VALU_DEP_3) | instskip(SKIP_1) | instid1(VALU_DEP_4)
	v_fma_f64 v[20:21], v[46:47], s[40:41], v[12:13]
	v_fma_f64 v[12:13], v[46:47], s[20:21], v[12:13]
	v_add_f64 v[10:11], v[10:11], v[22:23]
	v_mul_f64 v[22:23], v[52:53], s[42:43]
	s_delay_alu instid0(VALU_DEP_4) | instskip(SKIP_2) | instid1(VALU_DEP_4)
	v_add_f64 v[20:21], v[20:21], v[36:37]
	v_add_f64 v[8:9], v[8:9], v[14:15]
	v_add_f64 v[12:13], v[12:13], v[30:31]
	v_fma_f64 v[36:37], v[56:57], s[24:25], v[22:23]
	v_fma_f64 v[14:15], v[56:57], s[24:25], -v[22:23]
	s_delay_alu instid0(VALU_DEP_2) | instskip(SKIP_1) | instid1(VALU_DEP_3)
	v_add_f64 v[10:11], v[36:37], v[10:11]
	v_mul_f64 v[36:37], v[54:55], s[24:25]
	v_add_f64 v[8:9], v[14:15], v[8:9]
	s_delay_alu instid0(VALU_DEP_2) | instskip(SKIP_1) | instid1(VALU_DEP_2)
	v_fma_f64 v[48:49], v[58:59], s[22:23], v[36:37]
	v_fma_f64 v[14:15], v[58:59], s[42:43], v[36:37]
	v_add_f64 v[20:21], v[48:49], v[20:21]
	v_mul_f64 v[48:49], v[64:65], s[38:39]
	s_delay_alu instid0(VALU_DEP_3) | instskip(NEXT) | instid1(VALU_DEP_2)
	v_add_f64 v[12:13], v[14:15], v[12:13]
	v_fma_f64 v[50:51], v[68:69], s[26:27], v[48:49]
	v_fma_f64 v[14:15], v[68:69], s[26:27], -v[48:49]
	s_delay_alu instid0(VALU_DEP_2) | instskip(SKIP_1) | instid1(VALU_DEP_3)
	v_add_f64 v[10:11], v[50:51], v[10:11]
	v_mul_f64 v[50:51], v[66:67], s[26:27]
	v_add_f64 v[8:9], v[14:15], v[8:9]
	s_delay_alu instid0(VALU_DEP_2) | instskip(SKIP_2) | instid1(VALU_DEP_3)
	v_fma_f64 v[60:61], v[70:71], s[16:17], v[50:51]
	v_fma_f64 v[14:15], v[70:71], s[38:39], v[50:51]
	v_add_f64 v[50:51], v[190:191], -v[194:195]
	v_add_f64 v[20:21], v[60:61], v[20:21]
	v_mul_f64 v[60:61], v[152:153], s[34:35]
	s_delay_alu instid0(VALU_DEP_4) | instskip(NEXT) | instid1(VALU_DEP_2)
	v_add_f64 v[12:13], v[14:15], v[12:13]
	v_fma_f64 v[62:63], v[156:157], s[14:15], v[60:61]
	v_fma_f64 v[14:15], v[156:157], s[14:15], -v[60:61]
	s_delay_alu instid0(VALU_DEP_2) | instskip(SKIP_1) | instid1(VALU_DEP_3)
	v_add_f64 v[132:133], v[62:63], v[10:11]
	v_mul_f64 v[10:11], v[154:155], s[14:15]
	v_add_f64 v[128:129], v[14:15], v[8:9]
	v_mul_f64 v[8:9], v[4:5], s[42:43]
	s_delay_alu instid0(VALU_DEP_3) | instskip(SKIP_1) | instid1(VALU_DEP_2)
	v_fma_f64 v[62:63], v[158:159], s[18:19], v[10:11]
	v_fma_f64 v[10:11], v[158:159], s[34:35], v[10:11]
	v_add_f64 v[134:135], v[62:63], v[20:21]
	s_delay_alu instid0(VALU_DEP_2)
	v_add_f64 v[130:131], v[10:11], v[12:13]
	v_fma_f64 v[10:11], v[44:45], s[24:25], v[8:9]
	v_mul_f64 v[20:21], v[52:53], s[36:37]
	v_mul_f64 v[12:13], v[6:7], s[24:25]
	v_fma_f64 v[8:9], v[44:45], s[24:25], -v[8:9]
	v_add_f64 v[62:63], v[182:183], v[186:187]
	v_add_f64 v[10:11], v[10:11], v[24:25]
	v_fma_f64 v[22:23], v[56:57], s[30:31], v[20:21]
	v_fma_f64 v[14:15], v[46:47], s[22:23], v[12:13]
	v_add_f64 v[8:9], v[8:9], v[16:17]
	v_fma_f64 v[12:13], v[46:47], s[42:43], v[12:13]
	v_mul_f64 v[16:17], v[52:53], s[18:19]
	v_add_f64 v[10:11], v[22:23], v[10:11]
	v_mul_f64 v[22:23], v[54:55], s[30:31]
	v_add_f64 v[14:15], v[14:15], v[38:39]
	v_add_f64 v[12:13], v[12:13], v[32:33]
	s_delay_alu instid0(VALU_DEP_3) | instskip(NEXT) | instid1(VALU_DEP_1)
	v_fma_f64 v[24:25], v[58:59], s[8:9], v[22:23]
	v_add_f64 v[14:15], v[24:25], v[14:15]
	v_mul_f64 v[24:25], v[64:65], s[18:19]
	s_delay_alu instid0(VALU_DEP_1) | instskip(NEXT) | instid1(VALU_DEP_1)
	v_fma_f64 v[30:31], v[68:69], s[14:15], v[24:25]
	v_add_f64 v[10:11], v[30:31], v[10:11]
	v_mul_f64 v[30:31], v[66:67], s[14:15]
	s_delay_alu instid0(VALU_DEP_1) | instskip(NEXT) | instid1(VALU_DEP_1)
	;; [unrolled: 4-line block ×3, first 2 shown]
	v_fma_f64 v[38:39], v[156:157], s[28:29], v[36:37]
	v_add_f64 v[140:141], v[38:39], v[10:11]
	v_mul_f64 v[10:11], v[154:155], s[28:29]
	s_delay_alu instid0(VALU_DEP_1) | instskip(SKIP_1) | instid1(VALU_DEP_2)
	v_fma_f64 v[38:39], v[158:159], s[40:41], v[10:11]
	v_fma_f64 v[10:11], v[158:159], s[20:21], v[10:11]
	v_add_f64 v[142:143], v[38:39], v[14:15]
	v_fma_f64 v[14:15], v[56:57], s[30:31], -v[20:21]
	v_fma_f64 v[20:21], v[56:57], s[14:15], v[16:17]
	s_delay_alu instid0(VALU_DEP_2) | instskip(SKIP_1) | instid1(VALU_DEP_1)
	v_add_f64 v[8:9], v[14:15], v[8:9]
	v_fma_f64 v[14:15], v[58:59], s[36:37], v[22:23]
	v_add_f64 v[12:13], v[14:15], v[12:13]
	v_fma_f64 v[14:15], v[68:69], s[14:15], -v[24:25]
	s_delay_alu instid0(VALU_DEP_1) | instskip(SKIP_1) | instid1(VALU_DEP_1)
	v_add_f64 v[8:9], v[14:15], v[8:9]
	v_fma_f64 v[14:15], v[70:71], s[18:19], v[30:31]
	v_add_f64 v[12:13], v[14:15], v[12:13]
	v_fma_f64 v[14:15], v[156:157], s[28:29], -v[36:37]
	s_delay_alu instid0(VALU_DEP_2) | instskip(NEXT) | instid1(VALU_DEP_2)
	v_add_f64 v[138:139], v[10:11], v[12:13]
	v_add_f64 v[136:137], v[14:15], v[8:9]
	v_mul_f64 v[8:9], v[4:5], s[38:39]
	v_mul_f64 v[12:13], v[6:7], s[26:27]
	;; [unrolled: 1-line block ×4, first 2 shown]
	s_delay_alu instid0(VALU_DEP_4) | instskip(NEXT) | instid1(VALU_DEP_4)
	v_fma_f64 v[10:11], v[44:45], s[26:27], v[8:9]
	v_fma_f64 v[14:15], v[46:47], s[16:17], v[12:13]
	v_fma_f64 v[8:9], v[44:45], s[26:27], -v[8:9]
	v_fma_f64 v[12:13], v[46:47], s[38:39], v[12:13]
	s_delay_alu instid0(VALU_DEP_4) | instskip(NEXT) | instid1(VALU_DEP_4)
	v_add_f64 v[10:11], v[10:11], v[26:27]
	v_add_f64 v[14:15], v[14:15], v[40:41]
	s_delay_alu instid0(VALU_DEP_4) | instskip(NEXT) | instid1(VALU_DEP_4)
	v_add_f64 v[8:9], v[8:9], v[18:19]
	v_add_f64 v[12:13], v[12:13], v[34:35]
	s_delay_alu instid0(VALU_DEP_4) | instskip(SKIP_1) | instid1(VALU_DEP_1)
	v_add_f64 v[10:11], v[20:21], v[10:11]
	v_mul_f64 v[20:21], v[54:55], s[14:15]
	v_fma_f64 v[22:23], v[58:59], s[34:35], v[20:21]
	s_delay_alu instid0(VALU_DEP_1) | instskip(SKIP_1) | instid1(VALU_DEP_1)
	v_add_f64 v[14:15], v[22:23], v[14:15]
	v_mul_f64 v[22:23], v[64:65], s[22:23]
	v_fma_f64 v[24:25], v[68:69], s[24:25], v[22:23]
	s_delay_alu instid0(VALU_DEP_1) | instskip(SKIP_1) | instid1(VALU_DEP_1)
	;; [unrolled: 4-line block ×4, first 2 shown]
	v_add_f64 v[144:145], v[30:31], v[10:11]
	v_mul_f64 v[10:11], v[154:155], s[30:31]
	v_fma_f64 v[30:31], v[158:159], s[8:9], v[10:11]
	v_fma_f64 v[10:11], v[158:159], s[36:37], v[10:11]
	s_delay_alu instid0(VALU_DEP_2) | instskip(SKIP_1) | instid1(VALU_DEP_1)
	v_add_f64 v[146:147], v[30:31], v[14:15]
	v_fma_f64 v[14:15], v[56:57], s[14:15], -v[16:17]
	v_add_f64 v[8:9], v[14:15], v[8:9]
	v_fma_f64 v[14:15], v[58:59], s[18:19], v[20:21]
	s_delay_alu instid0(VALU_DEP_1) | instskip(SKIP_2) | instid1(VALU_DEP_2)
	v_add_f64 v[12:13], v[14:15], v[12:13]
	v_fma_f64 v[14:15], v[68:69], s[24:25], -v[22:23]
	v_mul_f64 v[22:23], v[154:155], s[26:27]
	v_add_f64 v[8:9], v[14:15], v[8:9]
	v_fma_f64 v[14:15], v[70:71], s[22:23], v[24:25]
	s_delay_alu instid0(VALU_DEP_1) | instskip(SKIP_1) | instid1(VALU_DEP_2)
	v_add_f64 v[12:13], v[14:15], v[12:13]
	v_fma_f64 v[14:15], v[156:157], s[30:31], -v[26:27]
	v_add_f64 v[150:151], v[10:11], v[12:13]
	s_delay_alu instid0(VALU_DEP_2)
	v_add_f64 v[148:149], v[14:15], v[8:9]
	v_fma_f64 v[8:9], v[44:45], s[14:15], v[4:5]
	v_mul_f64 v[12:13], v[52:53], s[20:21]
	v_fma_f64 v[10:11], v[46:47], s[18:19], v[6:7]
	v_fma_f64 v[4:5], v[44:45], s[14:15], -v[4:5]
	v_fma_f64 v[6:7], v[46:47], s[34:35], v[6:7]
	v_add_f64 v[52:53], v[190:191], v[194:195]
	v_add_f64 v[8:9], v[8:9], v[28:29]
	v_fma_f64 v[14:15], v[56:57], s[28:29], v[12:13]
	v_add_f64 v[10:11], v[10:11], v[42:43]
	v_add_f64 v[0:1], v[4:5], v[0:1]
	;; [unrolled: 1-line block ×3, first 2 shown]
	v_fma_f64 v[4:5], v[56:57], s[28:29], -v[12:13]
	v_add_f64 v[56:57], v[188:189], -v[192:193]
	v_mul_f64 v[60:61], v[52:53], s[30:31]
	v_add_f64 v[8:9], v[14:15], v[8:9]
	v_mul_f64 v[14:15], v[54:55], s[28:29]
	v_add_f64 v[54:55], v[188:189], v[192:193]
	v_add_f64 v[0:1], v[4:5], v[0:1]
	s_delay_alu instid0(VALU_DEP_3) | instskip(SKIP_2) | instid1(VALU_DEP_3)
	v_fma_f64 v[16:17], v[58:59], s[40:41], v[14:15]
	v_fma_f64 v[6:7], v[58:59], s[20:21], v[14:15]
	v_mul_f64 v[58:59], v[50:51], s[8:9]
	v_add_f64 v[10:11], v[16:17], v[10:11]
	v_mul_f64 v[16:17], v[64:65], s[36:37]
	s_delay_alu instid0(VALU_DEP_4) | instskip(SKIP_1) | instid1(VALU_DEP_3)
	v_add_f64 v[2:3], v[6:7], v[2:3]
	v_add_f64 v[64:65], v[180:181], v[184:185]
	v_fma_f64 v[18:19], v[68:69], s[30:31], v[16:17]
	v_fma_f64 v[4:5], v[68:69], s[30:31], -v[16:17]
	s_delay_alu instid0(VALU_DEP_2) | instskip(SKIP_1) | instid1(VALU_DEP_3)
	v_add_f64 v[8:9], v[18:19], v[8:9]
	v_mul_f64 v[18:19], v[66:67], s[30:31]
	v_add_f64 v[0:1], v[4:5], v[0:1]
	v_add_f64 v[66:67], v[180:181], -v[184:185]
	s_delay_alu instid0(VALU_DEP_3) | instskip(SKIP_2) | instid1(VALU_DEP_3)
	v_fma_f64 v[20:21], v[70:71], s[8:9], v[18:19]
	v_fma_f64 v[6:7], v[70:71], s[36:37], v[18:19]
	v_mul_f64 v[70:71], v[62:63], s[26:27]
	v_add_f64 v[10:11], v[20:21], v[10:11]
	v_mul_f64 v[20:21], v[152:153], s[16:17]
	s_delay_alu instid0(VALU_DEP_4) | instskip(SKIP_1) | instid1(VALU_DEP_3)
	v_add_f64 v[2:3], v[6:7], v[2:3]
	v_fma_f64 v[6:7], v[158:159], s[16:17], v[22:23]
	v_fma_f64 v[4:5], v[156:157], s[26:27], -v[20:21]
	v_fma_f64 v[24:25], v[156:157], s[26:27], v[20:21]
	s_delay_alu instid0(VALU_DEP_3) | instskip(NEXT) | instid1(VALU_DEP_3)
	v_add_f64 v[162:163], v[6:7], v[2:3]
	v_add_f64 v[160:161], v[4:5], v[0:1]
	ds_load_b128 v[0:3], v252 offset:1632
	v_add_f64 v[152:153], v[24:25], v[8:9]
	v_fma_f64 v[8:9], v[158:159], s[38:39], v[22:23]
	s_waitcnt lgkmcnt(0)
	s_barrier
	buffer_gl0_inv
	v_add_f64 v[4:5], v[0:1], v[196:197]
	v_add_f64 v[6:7], v[2:3], v[198:199]
	;; [unrolled: 1-line block ×4, first 2 shown]
	v_add_f64 v[10:11], v[196:197], -v[200:201]
	ds_store_b128 v252, v[80:83]
	ds_store_b128 v252, v[76:79] offset:816
	ds_store_b128 v252, v[88:91] offset:1632
	;; [unrolled: 1-line block ×21, first 2 shown]
	v_add_f64 v[4:5], v[4:5], v[188:189]
	v_add_f64 v[6:7], v[6:7], v[190:191]
	;; [unrolled: 1-line block ×3, first 2 shown]
	s_delay_alu instid0(VALU_DEP_3) | instskip(NEXT) | instid1(VALU_DEP_3)
	v_add_f64 v[4:5], v[4:5], v[180:181]
	v_add_f64 v[6:7], v[6:7], v[182:183]
	v_add_f64 v[180:181], v[174:175], -v[178:179]
	s_delay_alu instid0(VALU_DEP_3) | instskip(NEXT) | instid1(VALU_DEP_3)
	v_add_f64 v[4:5], v[4:5], v[172:173]
	v_add_f64 v[6:7], v[6:7], v[174:175]
	;; [unrolled: 1-line block ×3, first 2 shown]
	s_delay_alu instid0(VALU_DEP_3) | instskip(NEXT) | instid1(VALU_DEP_3)
	v_add_f64 v[4:5], v[4:5], v[164:165]
	v_add_f64 v[6:7], v[6:7], v[166:167]
	s_delay_alu instid0(VALU_DEP_3) | instskip(NEXT) | instid1(VALU_DEP_3)
	v_mul_f64 v[188:189], v[174:175], s[28:29]
	v_add_f64 v[4:5], v[4:5], v[168:169]
	s_delay_alu instid0(VALU_DEP_3) | instskip(NEXT) | instid1(VALU_DEP_2)
	v_add_f64 v[6:7], v[6:7], v[170:171]
	v_add_f64 v[4:5], v[4:5], v[176:177]
	s_delay_alu instid0(VALU_DEP_2) | instskip(NEXT) | instid1(VALU_DEP_2)
	v_add_f64 v[6:7], v[6:7], v[178:179]
	v_add_f64 v[4:5], v[4:5], v[184:185]
	s_delay_alu instid0(VALU_DEP_2) | instskip(SKIP_1) | instid1(VALU_DEP_3)
	v_add_f64 v[6:7], v[6:7], v[186:187]
	v_add_f64 v[184:185], v[172:173], -v[176:177]
	v_add_f64 v[4:5], v[4:5], v[192:193]
	s_delay_alu instid0(VALU_DEP_3) | instskip(SKIP_1) | instid1(VALU_DEP_3)
	v_add_f64 v[6:7], v[6:7], v[194:195]
	v_add_f64 v[192:193], v[164:165], -v[168:169]
	v_add_f64 v[156:157], v[4:5], v[200:201]
	v_add_f64 v[4:5], v[198:199], -v[202:203]
	s_delay_alu instid0(VALU_DEP_4) | instskip(SKIP_1) | instid1(VALU_DEP_3)
	v_add_f64 v[158:159], v[6:7], v[202:203]
	v_add_f64 v[6:7], v[198:199], v[202:203]
	v_mul_f64 v[12:13], v[4:5], s[18:19]
	v_mul_f64 v[14:15], v[4:5], s[8:9]
	;; [unrolled: 1-line block ×8, first 2 shown]
	v_fma_f64 v[20:21], v[8:9], s[14:15], v[12:13]
	v_fma_f64 v[12:13], v[8:9], s[14:15], -v[12:13]
	v_fma_f64 v[22:23], v[8:9], s[30:31], v[14:15]
	v_fma_f64 v[14:15], v[8:9], s[30:31], -v[14:15]
	;; [unrolled: 2-line block ×5, first 2 shown]
	v_mul_f64 v[8:9], v[6:7], s[14:15]
	v_mul_f64 v[6:7], v[6:7], s[24:25]
	v_fma_f64 v[38:39], v[10:11], s[36:37], v[30:31]
	v_fma_f64 v[30:31], v[10:11], s[8:9], v[30:31]
	;; [unrolled: 1-line block ×6, first 2 shown]
	v_add_f64 v[14:15], v[0:1], v[14:15]
	v_add_f64 v[24:25], v[0:1], v[24:25]
	;; [unrolled: 1-line block ×5, first 2 shown]
	v_fma_f64 v[36:37], v[10:11], s[34:35], v[8:9]
	v_fma_f64 v[8:9], v[10:11], s[18:19], v[8:9]
	;; [unrolled: 1-line block ×4, first 2 shown]
	v_add_f64 v[10:11], v[0:1], v[20:21]
	v_add_f64 v[32:33], v[2:3], v[32:33]
	;; [unrolled: 1-line block ×13, first 2 shown]
	v_fma_f64 v[2:3], v[56:57], s[36:37], v[60:61]
	v_add_f64 v[40:41], v[0:1], v[18:19]
	v_add_f64 v[44:45], v[0:1], v[4:5]
	v_fma_f64 v[0:1], v[54:55], s[30:31], v[58:59]
	s_delay_alu instid0(VALU_DEP_4) | instskip(SKIP_2) | instid1(VALU_DEP_4)
	v_add_f64 v[2:3], v[2:3], v[20:21]
	v_add_f64 v[20:21], v[182:183], -v[186:187]
	v_add_f64 v[182:183], v[172:173], v[176:177]
	v_add_f64 v[0:1], v[0:1], v[10:11]
	v_mul_f64 v[186:187], v[180:181], s[20:21]
	v_add_f64 v[172:173], v[166:167], -v[170:171]
	v_add_f64 v[176:177], v[166:167], v[170:171]
	v_mul_f64 v[10:11], v[50:51], s[20:21]
	v_mul_f64 v[68:69], v[20:21], s[16:17]
	s_delay_alu instid0(VALU_DEP_4) | instskip(NEXT) | instid1(VALU_DEP_4)
	v_mul_f64 v[194:195], v[172:173], s[22:23]
	v_mul_f64 v[196:197], v[176:177], s[24:25]
	s_delay_alu instid0(VALU_DEP_3) | instskip(NEXT) | instid1(VALU_DEP_1)
	v_fma_f64 v[4:5], v[64:65], s[26:27], v[68:69]
	v_add_f64 v[0:1], v[4:5], v[0:1]
	v_fma_f64 v[4:5], v[66:67], s[38:39], v[70:71]
	s_delay_alu instid0(VALU_DEP_1) | instskip(SKIP_1) | instid1(VALU_DEP_1)
	v_add_f64 v[2:3], v[4:5], v[2:3]
	v_fma_f64 v[4:5], v[182:183], s[28:29], v[186:187]
	v_add_f64 v[0:1], v[4:5], v[0:1]
	v_fma_f64 v[4:5], v[184:185], s[40:41], v[188:189]
	s_delay_alu instid0(VALU_DEP_1) | instskip(SKIP_1) | instid1(VALU_DEP_1)
	v_add_f64 v[2:3], v[4:5], v[2:3]
	v_fma_f64 v[4:5], v[190:191], s[24:25], v[194:195]
	v_add_f64 v[0:1], v[4:5], v[0:1]
	v_fma_f64 v[4:5], v[192:193], s[42:43], v[196:197]
	s_delay_alu instid0(VALU_DEP_1) | instskip(SKIP_2) | instid1(VALU_DEP_2)
	v_add_f64 v[2:3], v[4:5], v[2:3]
	v_fma_f64 v[4:5], v[54:55], s[28:29], v[10:11]
	v_fma_f64 v[10:11], v[54:55], s[28:29], -v[10:11]
	v_add_f64 v[4:5], v[4:5], v[8:9]
	v_mul_f64 v[8:9], v[52:53], s[28:29]
	s_delay_alu instid0(VALU_DEP_3) | instskip(NEXT) | instid1(VALU_DEP_2)
	v_add_f64 v[10:11], v[10:11], v[14:15]
	v_fma_f64 v[6:7], v[56:57], s[40:41], v[8:9]
	v_fma_f64 v[8:9], v[56:57], s[20:21], v[8:9]
	s_delay_alu instid0(VALU_DEP_2) | instskip(SKIP_1) | instid1(VALU_DEP_3)
	v_add_f64 v[6:7], v[6:7], v[12:13]
	v_mul_f64 v[12:13], v[20:21], s[42:43]
	v_add_f64 v[8:9], v[8:9], v[22:23]
	v_mul_f64 v[22:23], v[52:53], s[24:25]
	s_delay_alu instid0(VALU_DEP_3) | instskip(SKIP_1) | instid1(VALU_DEP_2)
	v_fma_f64 v[18:19], v[64:65], s[24:25], v[12:13]
	v_fma_f64 v[12:13], v[64:65], s[24:25], -v[12:13]
	v_add_f64 v[4:5], v[18:19], v[4:5]
	v_mul_f64 v[18:19], v[62:63], s[24:25]
	s_delay_alu instid0(VALU_DEP_3) | instskip(NEXT) | instid1(VALU_DEP_2)
	v_add_f64 v[10:11], v[12:13], v[10:11]
	v_fma_f64 v[164:165], v[66:67], s[22:23], v[18:19]
	v_fma_f64 v[12:13], v[66:67], s[42:43], v[18:19]
	v_mul_f64 v[18:19], v[50:51], s[42:43]
	s_delay_alu instid0(VALU_DEP_3) | instskip(SKIP_1) | instid1(VALU_DEP_4)
	v_add_f64 v[6:7], v[164:165], v[6:7]
	v_mul_f64 v[164:165], v[180:181], s[38:39]
	v_add_f64 v[8:9], v[12:13], v[8:9]
	s_delay_alu instid0(VALU_DEP_2) | instskip(SKIP_1) | instid1(VALU_DEP_2)
	v_fma_f64 v[166:167], v[182:183], s[26:27], v[164:165]
	v_fma_f64 v[12:13], v[182:183], s[26:27], -v[164:165]
	v_add_f64 v[4:5], v[166:167], v[4:5]
	v_mul_f64 v[166:167], v[174:175], s[26:27]
	s_delay_alu instid0(VALU_DEP_3) | instskip(NEXT) | instid1(VALU_DEP_2)
	v_add_f64 v[10:11], v[12:13], v[10:11]
	v_fma_f64 v[168:169], v[184:185], s[16:17], v[166:167]
	v_fma_f64 v[12:13], v[184:185], s[38:39], v[166:167]
	s_delay_alu instid0(VALU_DEP_2) | instskip(SKIP_1) | instid1(VALU_DEP_3)
	v_add_f64 v[6:7], v[168:169], v[6:7]
	v_mul_f64 v[168:169], v[172:173], s[34:35]
	v_add_f64 v[12:13], v[12:13], v[8:9]
	s_delay_alu instid0(VALU_DEP_2) | instskip(SKIP_1) | instid1(VALU_DEP_2)
	v_fma_f64 v[170:171], v[190:191], s[14:15], v[168:169]
	v_fma_f64 v[8:9], v[190:191], s[14:15], -v[168:169]
	v_add_f64 v[4:5], v[170:171], v[4:5]
	v_mul_f64 v[170:171], v[176:177], s[14:15]
	s_delay_alu instid0(VALU_DEP_3) | instskip(NEXT) | instid1(VALU_DEP_2)
	v_add_f64 v[8:9], v[8:9], v[10:11]
	v_fma_f64 v[14:15], v[192:193], s[34:35], v[170:171]
	v_fma_f64 v[178:179], v[192:193], s[18:19], v[170:171]
	s_delay_alu instid0(VALU_DEP_2) | instskip(SKIP_4) | instid1(VALU_DEP_4)
	v_add_f64 v[10:11], v[14:15], v[12:13]
	v_fma_f64 v[12:13], v[54:55], s[24:25], v[18:19]
	v_fma_f64 v[14:15], v[56:57], s[22:23], v[22:23]
	v_fma_f64 v[18:19], v[54:55], s[24:25], -v[18:19]
	v_add_f64 v[6:7], v[178:179], v[6:7]
	v_add_f64 v[12:13], v[12:13], v[24:25]
	v_mul_f64 v[24:25], v[20:21], s[36:37]
	v_add_f64 v[14:15], v[14:15], v[30:31]
	v_add_f64 v[16:17], v[18:19], v[16:17]
	v_fma_f64 v[18:19], v[56:57], s[42:43], v[22:23]
	s_delay_alu instid0(VALU_DEP_4) | instskip(SKIP_1) | instid1(VALU_DEP_3)
	v_fma_f64 v[30:31], v[64:65], s[30:31], v[24:25]
	v_fma_f64 v[22:23], v[64:65], s[30:31], -v[24:25]
	v_add_f64 v[18:19], v[18:19], v[32:33]
	v_mul_f64 v[32:33], v[20:21], s[18:19]
	v_mul_f64 v[20:21], v[20:21], s[20:21]
	v_add_f64 v[12:13], v[30:31], v[12:13]
	v_mul_f64 v[30:31], v[62:63], s[30:31]
	v_add_f64 v[16:17], v[22:23], v[16:17]
	s_delay_alu instid0(VALU_DEP_2) | instskip(SKIP_1) | instid1(VALU_DEP_2)
	v_fma_f64 v[164:165], v[66:67], s[8:9], v[30:31]
	v_fma_f64 v[22:23], v[66:67], s[36:37], v[30:31]
	v_add_f64 v[14:15], v[164:165], v[14:15]
	v_mul_f64 v[164:165], v[180:181], s[18:19]
	s_delay_alu instid0(VALU_DEP_3) | instskip(NEXT) | instid1(VALU_DEP_2)
	v_add_f64 v[18:19], v[22:23], v[18:19]
	v_fma_f64 v[166:167], v[182:183], s[14:15], v[164:165]
	v_fma_f64 v[22:23], v[182:183], s[14:15], -v[164:165]
	s_delay_alu instid0(VALU_DEP_2) | instskip(SKIP_1) | instid1(VALU_DEP_3)
	v_add_f64 v[12:13], v[166:167], v[12:13]
	v_mul_f64 v[166:167], v[174:175], s[14:15]
	v_add_f64 v[16:17], v[22:23], v[16:17]
	s_delay_alu instid0(VALU_DEP_2) | instskip(SKIP_1) | instid1(VALU_DEP_2)
	v_fma_f64 v[168:169], v[184:185], s[34:35], v[166:167]
	v_fma_f64 v[22:23], v[184:185], s[18:19], v[166:167]
	v_add_f64 v[14:15], v[168:169], v[14:15]
	v_mul_f64 v[168:169], v[172:173], s[20:21]
	s_delay_alu instid0(VALU_DEP_3) | instskip(NEXT) | instid1(VALU_DEP_2)
	v_add_f64 v[18:19], v[22:23], v[18:19]
	v_fma_f64 v[170:171], v[190:191], s[28:29], v[168:169]
	v_fma_f64 v[22:23], v[190:191], s[28:29], -v[168:169]
	v_mul_f64 v[168:169], v[180:181], s[22:23]
	s_delay_alu instid0(VALU_DEP_3) | instskip(SKIP_1) | instid1(VALU_DEP_4)
	v_add_f64 v[12:13], v[170:171], v[12:13]
	v_mul_f64 v[170:171], v[176:177], s[28:29]
	v_add_f64 v[16:17], v[22:23], v[16:17]
	v_mul_f64 v[22:23], v[50:51], s[38:39]
	s_delay_alu instid0(VALU_DEP_3) | instskip(SKIP_2) | instid1(VALU_DEP_3)
	v_fma_f64 v[24:25], v[192:193], s[20:21], v[170:171]
	v_fma_f64 v[178:179], v[192:193], s[40:41], v[170:171]
	v_mul_f64 v[170:171], v[174:175], s[24:25]
	v_add_f64 v[18:19], v[24:25], v[18:19]
	v_fma_f64 v[24:25], v[54:55], s[26:27], v[22:23]
	s_delay_alu instid0(VALU_DEP_4) | instskip(SKIP_2) | instid1(VALU_DEP_4)
	v_add_f64 v[14:15], v[178:179], v[14:15]
	v_mul_f64 v[178:179], v[172:173], s[36:37]
	v_fma_f64 v[22:23], v[54:55], s[26:27], -v[22:23]
	v_add_f64 v[24:25], v[24:25], v[26:27]
	v_mul_f64 v[26:27], v[52:53], s[26:27]
	s_delay_alu instid0(VALU_DEP_3) | instskip(SKIP_1) | instid1(VALU_DEP_3)
	v_add_f64 v[22:23], v[22:23], v[40:41]
	v_mul_f64 v[40:41], v[176:177], s[26:27]
	v_fma_f64 v[30:31], v[56:57], s[16:17], v[26:27]
	v_fma_f64 v[26:27], v[56:57], s[38:39], v[26:27]
	s_delay_alu instid0(VALU_DEP_2) | instskip(SKIP_1) | instid1(VALU_DEP_3)
	v_add_f64 v[30:31], v[30:31], v[38:39]
	v_fma_f64 v[38:39], v[64:65], s[14:15], v[32:33]
	v_add_f64 v[26:27], v[26:27], v[34:35]
	s_delay_alu instid0(VALU_DEP_2) | instskip(SKIP_1) | instid1(VALU_DEP_1)
	v_add_f64 v[24:25], v[38:39], v[24:25]
	v_mul_f64 v[38:39], v[62:63], s[14:15]
	v_fma_f64 v[164:165], v[66:67], s[34:35], v[38:39]
	s_delay_alu instid0(VALU_DEP_1) | instskip(SKIP_1) | instid1(VALU_DEP_1)
	v_add_f64 v[30:31], v[164:165], v[30:31]
	v_fma_f64 v[164:165], v[182:183], s[24:25], v[168:169]
	v_add_f64 v[24:25], v[164:165], v[24:25]
	v_fma_f64 v[164:165], v[184:185], s[42:43], v[170:171]
	s_delay_alu instid0(VALU_DEP_1) | instskip(SKIP_1) | instid1(VALU_DEP_1)
	v_add_f64 v[30:31], v[164:165], v[30:31]
	v_fma_f64 v[164:165], v[190:191], s[30:31], v[178:179]
	v_add_f64 v[164:165], v[164:165], v[24:25]
	v_mul_f64 v[24:25], v[176:177], s[30:31]
	s_delay_alu instid0(VALU_DEP_1) | instskip(SKIP_1) | instid1(VALU_DEP_2)
	v_fma_f64 v[166:167], v[192:193], s[8:9], v[24:25]
	v_fma_f64 v[24:25], v[192:193], s[36:37], v[24:25]
	v_add_f64 v[166:167], v[166:167], v[30:31]
	v_fma_f64 v[30:31], v[64:65], s[14:15], -v[32:33]
	s_delay_alu instid0(VALU_DEP_1) | instskip(SKIP_1) | instid1(VALU_DEP_1)
	v_add_f64 v[22:23], v[30:31], v[22:23]
	v_fma_f64 v[30:31], v[66:67], s[18:19], v[38:39]
	v_add_f64 v[26:27], v[30:31], v[26:27]
	v_fma_f64 v[30:31], v[182:183], s[24:25], -v[168:169]
	s_delay_alu instid0(VALU_DEP_1) | instskip(SKIP_1) | instid1(VALU_DEP_1)
	v_add_f64 v[22:23], v[30:31], v[22:23]
	v_fma_f64 v[30:31], v[184:185], s[22:23], v[170:171]
	v_add_f64 v[26:27], v[30:31], v[26:27]
	v_fma_f64 v[30:31], v[190:191], s[30:31], -v[178:179]
	s_delay_alu instid0(VALU_DEP_2) | instskip(NEXT) | instid1(VALU_DEP_2)
	v_add_f64 v[170:171], v[24:25], v[26:27]
	v_add_f64 v[168:169], v[30:31], v[22:23]
	v_mul_f64 v[22:23], v[50:51], s[34:35]
	v_mul_f64 v[26:27], v[52:53], s[14:15]
	v_fma_f64 v[30:31], v[64:65], s[28:29], v[20:21]
	v_fma_f64 v[20:21], v[64:65], s[28:29], -v[20:21]
	s_delay_alu instid0(VALU_DEP_4) | instskip(SKIP_1) | instid1(VALU_DEP_2)
	v_fma_f64 v[24:25], v[54:55], s[14:15], v[22:23]
	v_fma_f64 v[22:23], v[54:55], s[14:15], -v[22:23]
	v_add_f64 v[24:25], v[24:25], v[28:29]
	v_fma_f64 v[28:29], v[56:57], s[18:19], v[26:27]
	s_delay_alu instid0(VALU_DEP_3) | instskip(NEXT) | instid1(VALU_DEP_3)
	v_add_f64 v[22:23], v[22:23], v[44:45]
	v_add_f64 v[24:25], v[30:31], v[24:25]
	v_mul_f64 v[30:31], v[62:63], s[28:29]
	s_delay_alu instid0(VALU_DEP_4) | instskip(NEXT) | instid1(VALU_DEP_4)
	v_add_f64 v[28:29], v[28:29], v[42:43]
	v_add_f64 v[20:21], v[20:21], v[22:23]
	s_delay_alu instid0(VALU_DEP_3) | instskip(SKIP_1) | instid1(VALU_DEP_2)
	v_fma_f64 v[32:33], v[66:67], s[40:41], v[30:31]
	v_fma_f64 v[22:23], v[66:67], s[20:21], v[30:31]
	v_add_f64 v[28:29], v[32:33], v[28:29]
	v_mul_f64 v[32:33], v[180:181], s[36:37]
	s_delay_alu instid0(VALU_DEP_1) | instskip(NEXT) | instid1(VALU_DEP_1)
	v_fma_f64 v[34:35], v[182:183], s[30:31], v[32:33]
	v_add_f64 v[24:25], v[34:35], v[24:25]
	v_mul_f64 v[34:35], v[174:175], s[30:31]
	s_delay_alu instid0(VALU_DEP_1) | instskip(NEXT) | instid1(VALU_DEP_1)
	;; [unrolled: 4-line block ×3, first 2 shown]
	v_fma_f64 v[42:43], v[190:191], s[26:27], v[38:39]
	v_add_f64 v[172:173], v[42:43], v[24:25]
	v_fma_f64 v[24:25], v[192:193], s[38:39], v[40:41]
	s_delay_alu instid0(VALU_DEP_1) | instskip(SKIP_2) | instid1(VALU_DEP_2)
	v_add_f64 v[174:175], v[24:25], v[28:29]
	v_fma_f64 v[24:25], v[56:57], s[34:35], v[26:27]
	v_fma_f64 v[26:27], v[192:193], s[16:17], v[40:41]
	v_add_f64 v[24:25], v[24:25], v[48:49]
	s_delay_alu instid0(VALU_DEP_1) | instskip(SKIP_1) | instid1(VALU_DEP_1)
	v_add_f64 v[22:23], v[22:23], v[24:25]
	v_fma_f64 v[24:25], v[182:183], s[30:31], -v[32:33]
	v_add_f64 v[20:21], v[24:25], v[20:21]
	v_fma_f64 v[24:25], v[184:185], s[36:37], v[34:35]
	s_delay_alu instid0(VALU_DEP_1) | instskip(SKIP_1) | instid1(VALU_DEP_2)
	v_add_f64 v[22:23], v[24:25], v[22:23]
	v_fma_f64 v[24:25], v[190:191], s[26:27], -v[38:39]
	v_add_f64 v[178:179], v[26:27], v[22:23]
	s_delay_alu instid0(VALU_DEP_2) | instskip(SKIP_4) | instid1(VALU_DEP_4)
	v_add_f64 v[176:177], v[24:25], v[20:21]
	v_fma_f64 v[20:21], v[54:55], s[30:31], -v[58:59]
	v_fma_f64 v[24:25], v[64:65], s[26:27], -v[68:69]
	v_fma_f64 v[22:23], v[56:57], s[8:9], v[60:61]
	v_fma_f64 v[26:27], v[66:67], s[16:17], v[70:71]
	v_add_f64 v[20:21], v[20:21], v[36:37]
	s_delay_alu instid0(VALU_DEP_3) | instskip(NEXT) | instid1(VALU_DEP_2)
	v_add_f64 v[22:23], v[22:23], v[46:47]
	v_add_f64 v[20:21], v[24:25], v[20:21]
	v_fma_f64 v[24:25], v[182:183], s[28:29], -v[186:187]
	s_delay_alu instid0(VALU_DEP_3) | instskip(SKIP_1) | instid1(VALU_DEP_3)
	v_add_f64 v[22:23], v[26:27], v[22:23]
	v_fma_f64 v[26:27], v[184:185], s[20:21], v[188:189]
	v_add_f64 v[20:21], v[24:25], v[20:21]
	v_fma_f64 v[24:25], v[190:191], s[24:25], -v[194:195]
	s_delay_alu instid0(VALU_DEP_3) | instskip(SKIP_1) | instid1(VALU_DEP_3)
	v_add_f64 v[22:23], v[26:27], v[22:23]
	v_fma_f64 v[26:27], v[192:193], s[22:23], v[196:197]
	v_add_f64 v[180:181], v[24:25], v[20:21]
	scratch_load_b32 v20, off, off offset:1028 ; 4-byte Folded Reload
	v_add_f64 v[182:183], v[26:27], v[22:23]
	s_waitcnt vmcnt(0)
	ds_store_b128 v20, v[156:159] offset:17952
	ds_store_b128 v20, v[0:3] offset:18768
	;; [unrolled: 1-line block ×11, first 2 shown]
	s_waitcnt lgkmcnt(0)
	s_barrier
	buffer_gl0_inv
	s_clause 0x1
	scratch_load_b128 v[6:9], off, off offset:1040
	scratch_load_b128 v[34:37], off, off offset:1216
	ds_load_b128 v[0:3], v252 offset:8976
	scratch_load_b128 v[22:25], off, off offset:1248 ; 16-byte Folded Reload
	s_waitcnt vmcnt(2) lgkmcnt(0)
	v_mul_f64 v[4:5], v[8:9], v[2:3]
	s_delay_alu instid0(VALU_DEP_1) | instskip(SKIP_1) | instid1(VALU_DEP_1)
	v_fma_f64 v[18:19], v[6:7], v[0:1], v[4:5]
	v_mul_f64 v[0:1], v[8:9], v[0:1]
	v_fma_f64 v[14:15], v[6:7], v[2:3], -v[0:1]
	scratch_load_b128 v[6:9], off, off offset:1092 ; 16-byte Folded Reload
	ds_load_b128 v[0:3], v252 offset:17952
	s_waitcnt vmcnt(0) lgkmcnt(0)
	v_mul_f64 v[4:5], v[8:9], v[2:3]
	s_delay_alu instid0(VALU_DEP_1) | instskip(SKIP_1) | instid1(VALU_DEP_1)
	v_fma_f64 v[20:21], v[6:7], v[0:1], v[4:5]
	v_mul_f64 v[0:1], v[8:9], v[0:1]
	v_fma_f64 v[16:17], v[6:7], v[2:3], -v[0:1]
	scratch_load_b128 v[6:9], off, off offset:1076 ; 16-byte Folded Reload
	ds_load_b128 v[0:3], v252 offset:9792
	;; [unrolled: 8-line block ×5, first 2 shown]
	s_waitcnt vmcnt(0) lgkmcnt(0)
	v_mul_f64 v[4:5], v[8:9], v[2:3]
	s_delay_alu instid0(VALU_DEP_1) | instskip(SKIP_1) | instid1(VALU_DEP_2)
	v_fma_f64 v[42:43], v[6:7], v[0:1], v[4:5]
	v_mul_f64 v[0:1], v[8:9], v[0:1]
	v_add_f64 v[46:47], v[38:39], v[42:43]
	s_delay_alu instid0(VALU_DEP_2)
	v_fma_f64 v[44:45], v[6:7], v[2:3], -v[0:1]
	scratch_load_b128 v[6:9], off, off offset:1160 ; 16-byte Folded Reload
	ds_load_b128 v[0:3], v252 offset:11424
	v_add_f64 v[48:49], v[40:41], v[44:45]
	s_waitcnt vmcnt(0) lgkmcnt(0)
	v_mul_f64 v[4:5], v[8:9], v[2:3]
	s_delay_alu instid0(VALU_DEP_1) | instskip(SKIP_1) | instid1(VALU_DEP_1)
	v_fma_f64 v[50:51], v[6:7], v[0:1], v[4:5]
	v_mul_f64 v[0:1], v[8:9], v[0:1]
	v_fma_f64 v[52:53], v[6:7], v[2:3], -v[0:1]
	scratch_load_b128 v[6:9], off, off offset:1180 ; 16-byte Folded Reload
	ds_load_b128 v[0:3], v252 offset:20400
	s_waitcnt vmcnt(0) lgkmcnt(0)
	v_mul_f64 v[4:5], v[8:9], v[2:3]
	s_delay_alu instid0(VALU_DEP_1) | instskip(SKIP_1) | instid1(VALU_DEP_2)
	v_fma_f64 v[54:55], v[6:7], v[0:1], v[4:5]
	v_mul_f64 v[0:1], v[8:9], v[0:1]
	v_add_f64 v[58:59], v[50:51], v[54:55]
	s_delay_alu instid0(VALU_DEP_2)
	v_fma_f64 v[56:57], v[6:7], v[2:3], -v[0:1]
	scratch_load_b128 v[6:9], off, off offset:1196 ; 16-byte Folded Reload
	ds_load_b128 v[0:3], v252 offset:12240
	v_add_f64 v[60:61], v[52:53], v[56:57]
	s_waitcnt vmcnt(0) lgkmcnt(0)
	v_mul_f64 v[4:5], v[8:9], v[2:3]
	s_delay_alu instid0(VALU_DEP_1) | instskip(SKIP_1) | instid1(VALU_DEP_1)
	v_fma_f64 v[4:5], v[6:7], v[0:1], v[4:5]
	v_mul_f64 v[0:1], v[8:9], v[0:1]
	v_fma_f64 v[62:63], v[6:7], v[2:3], -v[0:1]
	ds_load_b128 v[0:3], v252 offset:21216
	s_waitcnt lgkmcnt(0)
	v_mul_f64 v[6:7], v[24:25], v[2:3]
	s_delay_alu instid0(VALU_DEP_1) | instskip(SKIP_1) | instid1(VALU_DEP_2)
	v_fma_f64 v[10:11], v[22:23], v[0:1], v[6:7]
	v_mul_f64 v[0:1], v[24:25], v[0:1]
	v_add_f64 v[64:65], v[4:5], v[10:11]
	s_delay_alu instid0(VALU_DEP_2)
	v_fma_f64 v[12:13], v[22:23], v[2:3], -v[0:1]
	scratch_load_b128 v[22:25], off, off offset:1380 ; 16-byte Folded Reload
	ds_load_b128 v[0:3], v252 offset:13056
	v_add_f64 v[66:67], v[62:63], v[12:13]
	s_waitcnt vmcnt(0) lgkmcnt(0)
	v_mul_f64 v[6:7], v[24:25], v[2:3]
	s_delay_alu instid0(VALU_DEP_1) | instskip(SKIP_2) | instid1(VALU_DEP_2)
	v_fma_f64 v[6:7], v[22:23], v[0:1], v[6:7]
	v_mul_f64 v[0:1], v[24:25], v[0:1]
	v_add_f64 v[24:25], v[14:15], v[16:17]
	v_fma_f64 v[8:9], v[22:23], v[2:3], -v[0:1]
	ds_load_b128 v[0:3], v252 offset:22032
	s_waitcnt lgkmcnt(0)
	v_mul_f64 v[22:23], v[36:37], v[2:3]
	s_delay_alu instid0(VALU_DEP_1) | instskip(SKIP_1) | instid1(VALU_DEP_1)
	v_fma_f64 v[70:71], v[34:35], v[0:1], v[22:23]
	v_mul_f64 v[0:1], v[36:37], v[0:1]
	v_fma_f64 v[72:73], v[34:35], v[2:3], -v[0:1]
	scratch_load_b128 v[34:37], off, off offset:1232 ; 16-byte Folded Reload
	ds_load_b128 v[0:3], v252 offset:13872
	s_waitcnt vmcnt(0) lgkmcnt(0)
	v_mul_f64 v[22:23], v[36:37], v[2:3]
	s_delay_alu instid0(VALU_DEP_1) | instskip(SKIP_1) | instid1(VALU_DEP_1)
	v_fma_f64 v[78:79], v[34:35], v[0:1], v[22:23]
	v_mul_f64 v[0:1], v[36:37], v[0:1]
	v_fma_f64 v[80:81], v[34:35], v[2:3], -v[0:1]
	scratch_load_b128 v[34:37], off, off offset:1280 ; 16-byte Folded Reload
	ds_load_b128 v[0:3], v252 offset:22848
	s_waitcnt vmcnt(0) lgkmcnt(0)
	v_mul_f64 v[22:23], v[36:37], v[2:3]
	s_delay_alu instid0(VALU_DEP_1) | instskip(SKIP_1) | instid1(VALU_DEP_1)
	v_fma_f64 v[82:83], v[34:35], v[0:1], v[22:23]
	v_mul_f64 v[0:1], v[36:37], v[0:1]
	v_fma_f64 v[84:85], v[34:35], v[2:3], -v[0:1]
	scratch_load_b128 v[34:37], off, off offset:1264 ; 16-byte Folded Reload
	ds_load_b128 v[0:3], v252 offset:14688
	v_add_f64 v[86:87], v[80:81], v[84:85]
	s_waitcnt vmcnt(0) lgkmcnt(0)
	v_mul_f64 v[22:23], v[36:37], v[2:3]
	s_delay_alu instid0(VALU_DEP_1) | instskip(SKIP_1) | instid1(VALU_DEP_1)
	v_fma_f64 v[90:91], v[34:35], v[0:1], v[22:23]
	v_mul_f64 v[0:1], v[36:37], v[0:1]
	v_fma_f64 v[92:93], v[34:35], v[2:3], -v[0:1]
	scratch_load_b128 v[34:37], off, off offset:1312 ; 16-byte Folded Reload
	ds_load_b128 v[0:3], v252 offset:23664
	s_waitcnt vmcnt(0) lgkmcnt(0)
	v_mul_f64 v[22:23], v[36:37], v[2:3]
	s_delay_alu instid0(VALU_DEP_1) | instskip(SKIP_1) | instid1(VALU_DEP_1)
	v_fma_f64 v[94:95], v[34:35], v[0:1], v[22:23]
	v_mul_f64 v[0:1], v[36:37], v[0:1]
	v_fma_f64 v[96:97], v[34:35], v[2:3], -v[0:1]
	scratch_load_b128 v[34:37], off, off offset:1328 ; 16-byte Folded Reload
	ds_load_b128 v[0:3], v252 offset:15504
	v_add_f64 v[98:99], v[92:93], v[96:97]
	;; [unrolled: 17-line block ×4, first 2 shown]
	s_waitcnt vmcnt(0) lgkmcnt(0)
	v_mul_f64 v[22:23], v[36:37], v[2:3]
	s_delay_alu instid0(VALU_DEP_1) | instskip(SKIP_1) | instid1(VALU_DEP_1)
	v_fma_f64 v[126:127], v[34:35], v[0:1], v[22:23]
	v_mul_f64 v[0:1], v[36:37], v[0:1]
	v_fma_f64 v[128:129], v[34:35], v[2:3], -v[0:1]
	scratch_load_b128 v[34:37], off, off offset:1412 ; 16-byte Folded Reload
	ds_load_b128 v[0:3], v252 offset:26112
	s_waitcnt vmcnt(0) lgkmcnt(0)
	v_mul_f64 v[22:23], v[36:37], v[2:3]
	s_delay_alu instid0(VALU_DEP_1) | instskip(SKIP_3) | instid1(VALU_DEP_3)
	v_fma_f64 v[130:131], v[34:35], v[0:1], v[22:23]
	v_mul_f64 v[0:1], v[36:37], v[0:1]
	v_add_f64 v[22:23], v[18:19], v[20:21]
	v_add_f64 v[36:37], v[28:29], v[32:33]
	v_fma_f64 v[132:133], v[34:35], v[2:3], -v[0:1]
	ds_load_b128 v[0:3], v252
	v_add_f64 v[34:35], v[14:15], -v[16:17]
	s_waitcnt lgkmcnt(0)
	v_fma_f64 v[22:23], v[22:23], -0.5, v[0:1]
	v_add_f64 v[0:1], v[0:1], v[18:19]
	v_fma_f64 v[24:25], v[24:25], -0.5, v[2:3]
	v_add_f64 v[2:3], v[2:3], v[14:15]
	v_add_f64 v[134:135], v[128:129], v[132:133]
	s_delay_alu instid0(VALU_DEP_4) | instskip(SKIP_1) | instid1(VALU_DEP_4)
	v_add_f64 v[14:15], v[0:1], v[20:21]
	v_add_f64 v[20:21], v[18:19], -v[20:21]
	v_add_f64 v[16:17], v[2:3], v[16:17]
	v_fma_f64 v[0:1], v[34:35], s[0:1], v[22:23]
	v_fma_f64 v[18:19], v[34:35], s[2:3], v[22:23]
	v_add_f64 v[34:35], v[26:27], v[30:31]
	v_fma_f64 v[2:3], v[20:21], s[2:3], v[24:25]
	v_fma_f64 v[20:21], v[20:21], s[0:1], v[24:25]
	ds_load_b128 v[22:25], v252 offset:816
	s_waitcnt lgkmcnt(0)
	v_fma_f64 v[36:37], v[36:37], -0.5, v[24:25]
	v_add_f64 v[24:25], v[24:25], v[28:29]
	v_fma_f64 v[34:35], v[34:35], -0.5, v[22:23]
	v_add_f64 v[22:23], v[22:23], v[26:27]
	v_add_f64 v[28:29], v[28:29], -v[32:33]
	s_delay_alu instid0(VALU_DEP_4) | instskip(SKIP_1) | instid1(VALU_DEP_4)
	v_add_f64 v[24:25], v[24:25], v[32:33]
	v_add_f64 v[32:33], v[26:27], -v[30:31]
	v_add_f64 v[22:23], v[22:23], v[30:31]
	s_delay_alu instid0(VALU_DEP_4) | instskip(SKIP_1) | instid1(VALU_DEP_4)
	v_fma_f64 v[26:27], v[28:29], s[0:1], v[34:35]
	v_fma_f64 v[30:31], v[28:29], s[2:3], v[34:35]
	v_fma_f64 v[28:29], v[32:33], s[2:3], v[36:37]
	v_fma_f64 v[32:33], v[32:33], s[0:1], v[36:37]
	ds_load_b128 v[34:37], v252 offset:1632
	s_waitcnt lgkmcnt(0)
	v_fma_f64 v[48:49], v[48:49], -0.5, v[36:37]
	v_add_f64 v[36:37], v[36:37], v[40:41]
	v_fma_f64 v[46:47], v[46:47], -0.5, v[34:35]
	v_add_f64 v[34:35], v[34:35], v[38:39]
	v_add_f64 v[40:41], v[40:41], -v[44:45]
	s_delay_alu instid0(VALU_DEP_4) | instskip(SKIP_1) | instid1(VALU_DEP_4)
	v_add_f64 v[36:37], v[36:37], v[44:45]
	v_add_f64 v[44:45], v[38:39], -v[42:43]
	v_add_f64 v[34:35], v[34:35], v[42:43]
	s_delay_alu instid0(VALU_DEP_4) | instskip(SKIP_1) | instid1(VALU_DEP_4)
	v_fma_f64 v[38:39], v[40:41], s[0:1], v[46:47]
	v_fma_f64 v[42:43], v[40:41], s[2:3], v[46:47]
	;; [unrolled: 16-line block ×3, first 2 shown]
	v_fma_f64 v[52:53], v[56:57], s[2:3], v[60:61]
	v_fma_f64 v[56:57], v[56:57], s[0:1], v[60:61]
	ds_load_b128 v[58:61], v252 offset:3264
	s_waitcnt lgkmcnt(0)
	v_fma_f64 v[64:65], v[64:65], -0.5, v[58:59]
	v_fma_f64 v[66:67], v[66:67], -0.5, v[60:61]
	v_add_f64 v[60:61], v[60:61], v[62:63]
	v_add_f64 v[58:59], v[58:59], v[4:5]
	v_add_f64 v[62:63], v[62:63], -v[12:13]
	v_add_f64 v[4:5], v[4:5], -v[10:11]
	s_delay_alu instid0(VALU_DEP_4) | instskip(NEXT) | instid1(VALU_DEP_4)
	v_add_f64 v[60:61], v[60:61], v[12:13]
	v_add_f64 v[58:59], v[58:59], v[10:11]
	s_delay_alu instid0(VALU_DEP_4)
	v_fma_f64 v[10:11], v[62:63], s[0:1], v[64:65]
	v_fma_f64 v[62:63], v[62:63], s[2:3], v[64:65]
	;; [unrolled: 1-line block ×4, first 2 shown]
	v_add_f64 v[4:5], v[6:7], v[70:71]
	ds_load_b128 v[66:69], v252 offset:4080
	s_waitcnt lgkmcnt(0)
	v_fma_f64 v[74:75], v[4:5], -0.5, v[66:67]
	v_add_f64 v[4:5], v[8:9], v[72:73]
	v_add_f64 v[66:67], v[66:67], v[6:7]
	s_delay_alu instid0(VALU_DEP_2) | instskip(SKIP_2) | instid1(VALU_DEP_4)
	v_fma_f64 v[76:77], v[4:5], -0.5, v[68:69]
	v_add_f64 v[4:5], v[68:69], v[8:9]
	v_add_f64 v[8:9], v[8:9], -v[72:73]
	v_add_f64 v[66:67], v[66:67], v[70:71]
	s_delay_alu instid0(VALU_DEP_3) | instskip(SKIP_1) | instid1(VALU_DEP_4)
	v_add_f64 v[68:69], v[4:5], v[72:73]
	v_add_f64 v[72:73], v[6:7], -v[70:71]
	v_fma_f64 v[4:5], v[8:9], s[0:1], v[74:75]
	v_fma_f64 v[70:71], v[8:9], s[2:3], v[74:75]
	v_add_f64 v[8:9], v[78:79], v[82:83]
	s_delay_alu instid0(VALU_DEP_4)
	v_fma_f64 v[6:7], v[72:73], s[2:3], v[76:77]
	v_fma_f64 v[72:73], v[72:73], s[0:1], v[76:77]
	ds_load_b128 v[74:77], v252 offset:4896
	s_waitcnt lgkmcnt(0)
	v_fma_f64 v[86:87], v[86:87], -0.5, v[76:77]
	v_add_f64 v[76:77], v[76:77], v[80:81]
	v_fma_f64 v[8:9], v[8:9], -0.5, v[74:75]
	v_add_f64 v[74:75], v[74:75], v[78:79]
	v_add_f64 v[80:81], v[80:81], -v[84:85]
	s_delay_alu instid0(VALU_DEP_4) | instskip(SKIP_1) | instid1(VALU_DEP_4)
	v_add_f64 v[76:77], v[76:77], v[84:85]
	v_add_f64 v[84:85], v[78:79], -v[82:83]
	v_add_f64 v[74:75], v[74:75], v[82:83]
	s_delay_alu instid0(VALU_DEP_4)
	v_fma_f64 v[78:79], v[80:81], s[0:1], v[8:9]
	v_fma_f64 v[82:83], v[80:81], s[2:3], v[8:9]
	v_add_f64 v[8:9], v[90:91], v[94:95]
	v_fma_f64 v[80:81], v[84:85], s[2:3], v[86:87]
	v_fma_f64 v[84:85], v[84:85], s[0:1], v[86:87]
	ds_load_b128 v[86:89], v252 offset:5712
	s_waitcnt lgkmcnt(0)
	v_fma_f64 v[98:99], v[98:99], -0.5, v[88:89]
	v_add_f64 v[88:89], v[88:89], v[92:93]
	v_fma_f64 v[8:9], v[8:9], -0.5, v[86:87]
	v_add_f64 v[86:87], v[86:87], v[90:91]
	v_add_f64 v[92:93], v[92:93], -v[96:97]
	s_delay_alu instid0(VALU_DEP_4) | instskip(SKIP_1) | instid1(VALU_DEP_4)
	v_add_f64 v[88:89], v[88:89], v[96:97]
	v_add_f64 v[96:97], v[90:91], -v[94:95]
	v_add_f64 v[86:87], v[86:87], v[94:95]
	s_delay_alu instid0(VALU_DEP_4)
	v_fma_f64 v[90:91], v[92:93], s[0:1], v[8:9]
	v_fma_f64 v[94:95], v[92:93], s[2:3], v[8:9]
	v_add_f64 v[8:9], v[102:103], v[106:107]
	v_fma_f64 v[92:93], v[96:97], s[2:3], v[98:99]
	v_fma_f64 v[96:97], v[96:97], s[0:1], v[98:99]
	ds_load_b128 v[98:101], v252 offset:6528
	s_waitcnt lgkmcnt(0)
	v_fma_f64 v[110:111], v[110:111], -0.5, v[100:101]
	v_add_f64 v[100:101], v[100:101], v[104:105]
	v_fma_f64 v[8:9], v[8:9], -0.5, v[98:99]
	v_add_f64 v[98:99], v[98:99], v[102:103]
	v_add_f64 v[104:105], v[104:105], -v[108:109]
	s_delay_alu instid0(VALU_DEP_4) | instskip(SKIP_1) | instid1(VALU_DEP_4)
	v_add_f64 v[100:101], v[100:101], v[108:109]
	v_add_f64 v[108:109], v[102:103], -v[106:107]
	v_add_f64 v[98:99], v[98:99], v[106:107]
	s_delay_alu instid0(VALU_DEP_4)
	v_fma_f64 v[102:103], v[104:105], s[0:1], v[8:9]
	v_fma_f64 v[106:107], v[104:105], s[2:3], v[8:9]
	v_add_f64 v[8:9], v[114:115], v[118:119]
	v_fma_f64 v[104:105], v[108:109], s[2:3], v[110:111]
	v_fma_f64 v[108:109], v[108:109], s[0:1], v[110:111]
	ds_load_b128 v[110:113], v252 offset:7344
	s_waitcnt lgkmcnt(0)
	v_fma_f64 v[122:123], v[122:123], -0.5, v[112:113]
	v_add_f64 v[112:113], v[112:113], v[116:117]
	v_fma_f64 v[8:9], v[8:9], -0.5, v[110:111]
	v_add_f64 v[110:111], v[110:111], v[114:115]
	v_add_f64 v[116:117], v[116:117], -v[120:121]
	s_delay_alu instid0(VALU_DEP_4) | instskip(SKIP_1) | instid1(VALU_DEP_4)
	v_add_f64 v[112:113], v[112:113], v[120:121]
	v_add_f64 v[120:121], v[114:115], -v[118:119]
	v_add_f64 v[110:111], v[110:111], v[118:119]
	s_delay_alu instid0(VALU_DEP_4)
	v_fma_f64 v[114:115], v[116:117], s[0:1], v[8:9]
	v_fma_f64 v[118:119], v[116:117], s[2:3], v[8:9]
	v_add_f64 v[8:9], v[126:127], v[130:131]
	v_fma_f64 v[116:117], v[120:121], s[2:3], v[122:123]
	v_fma_f64 v[120:121], v[120:121], s[0:1], v[122:123]
	ds_load_b128 v[122:125], v252 offset:8160
	s_waitcnt lgkmcnt(0)
	v_fma_f64 v[134:135], v[134:135], -0.5, v[124:125]
	v_add_f64 v[124:125], v[124:125], v[128:129]
	v_fma_f64 v[8:9], v[8:9], -0.5, v[122:123]
	v_add_f64 v[122:123], v[122:123], v[126:127]
	v_add_f64 v[128:129], v[128:129], -v[132:133]
	s_delay_alu instid0(VALU_DEP_4) | instskip(SKIP_1) | instid1(VALU_DEP_4)
	v_add_f64 v[124:125], v[124:125], v[132:133]
	v_add_f64 v[132:133], v[126:127], -v[130:131]
	v_add_f64 v[122:123], v[122:123], v[130:131]
	s_delay_alu instid0(VALU_DEP_4) | instskip(SKIP_1) | instid1(VALU_DEP_4)
	v_fma_f64 v[126:127], v[128:129], s[0:1], v[8:9]
	v_fma_f64 v[130:131], v[128:129], s[2:3], v[8:9]
	;; [unrolled: 1-line block ×4, first 2 shown]
	ds_store_b128 v252, v[14:17]
	ds_store_b128 v252, v[22:25] offset:816
	ds_store_b128 v252, v[18:21] offset:17952
	;; [unrolled: 1-line block ×32, first 2 shown]
	s_waitcnt lgkmcnt(0)
	s_barrier
	buffer_gl0_inv
	ds_load_b128 v[0:3], v252
	ds_load_b128 v[4:7], v252 offset:1584
	scratch_load_b128 v[28:31], off, off offset:196 ; 16-byte Folded Reload
	s_mov_b32 s2, 0x87d568ce
	s_mov_b32 s3, 0x3f437851
	s_mul_hi_u32 s1, s4, 0x63
	s_waitcnt vmcnt(0) lgkmcnt(1)
	v_mul_f64 v[16:17], v[30:31], v[2:3]
	v_mul_f64 v[18:19], v[30:31], v[0:1]
	scratch_load_b128 v[30:33], off, off offset:212 ; 16-byte Folded Reload
	ds_load_b128 v[8:11], v252 offset:3168
	ds_load_b128 v[12:15], v252 offset:4752
	s_clause 0x6
	scratch_load_b128 v[52:55], off, off offset:180
	scratch_load_b128 v[90:93], off, off offset:260
	;; [unrolled: 1-line block ×7, first 2 shown]
	v_fma_f64 v[0:1], v[28:29], v[0:1], v[16:17]
	v_fma_f64 v[2:3], v[28:29], v[2:3], -v[18:19]
	ds_load_b128 v[16:19], v252 offset:6336
	s_waitcnt vmcnt(7) lgkmcnt(3)
	v_mul_f64 v[20:21], v[32:33], v[6:7]
	v_mul_f64 v[22:23], v[32:33], v[4:5]
	s_waitcnt vmcnt(6) lgkmcnt(2)
	v_mul_f64 v[24:25], v[54:55], v[10:11]
	v_mul_f64 v[26:27], v[54:55], v[8:9]
	scratch_load_b128 v[54:57], off, off offset:436 ; 16-byte Folded Reload
	v_fma_f64 v[28:29], v[30:31], v[4:5], v[20:21]
	scratch_load_b64 v[20:21], off, off offset:172 ; 8-byte Folded Reload
	v_fma_f64 v[30:31], v[30:31], v[6:7], -v[22:23]
	scratch_load_b32 v23, off, off          ; 4-byte Folded Reload
	v_fma_f64 v[50:51], v[52:53], v[8:9], v[24:25]
	v_fma_f64 v[52:53], v[52:53], v[10:11], -v[26:27]
	ds_load_b128 v[8:11], v252 offset:9504
	ds_load_b128 v[4:7], v252 offset:7920
	s_waitcnt vmcnt(7) lgkmcnt(2)
	v_mul_f64 v[42:43], v[60:61], v[18:19]
	v_mul_f64 v[44:45], v[60:61], v[16:17]
	;; [unrolled: 1-line block ×4, first 2 shown]
	ds_load_b128 v[28:31], v252 offset:11088
	s_waitcnt vmcnt(2)
	v_mul_f64 v[36:37], v[56:57], v[14:15]
	v_mul_f64 v[38:39], v[56:57], v[12:13]
	v_fma_f64 v[56:57], v[58:59], v[16:17], v[42:43]
	v_fma_f64 v[58:59], v[58:59], v[18:19], -v[44:45]
	ds_load_b128 v[16:19], v252 offset:15840
	s_waitcnt vmcnt(1)
	v_mov_b32_e32 v34, v20
	s_waitcnt vmcnt(0)
	v_mad_u64_u32 v[40:41], null, s4, v23, 0
	v_fma_f64 v[36:37], v[54:55], v[12:13], v[36:37]
	s_delay_alu instid0(VALU_DEP_3)
	v_mad_u64_u32 v[32:33], null, s6, v34, 0
	v_fma_f64 v[38:39], v[54:55], v[14:15], -v[38:39]
	s_waitcnt lgkmcnt(3)
	v_mul_f64 v[54:55], v[74:75], v[8:9]
	ds_load_b128 v[12:15], v252 offset:14256
	s_mul_i32 s6, s4, 0x63
	v_mov_b32_e32 v20, v33
	s_delay_alu instid0(VALU_DEP_1) | instskip(SKIP_1) | instid1(VALU_DEP_2)
	v_mad_u64_u32 v[21:22], null, s7, v34, v[20:21]
	v_mov_b32_e32 v20, v41
	v_mov_b32_e32 v33, v21
	s_delay_alu instid0(VALU_DEP_2) | instskip(SKIP_2) | instid1(VALU_DEP_4)
	v_mad_u64_u32 v[34:35], null, s5, v23, v[20:21]
	v_mul_f64 v[20:21], v[0:1], s[2:3]
	v_mul_f64 v[22:23], v[2:3], s[2:3]
	v_lshlrev_b64 v[0:1], 4, v[32:33]
	s_waitcnt lgkmcnt(0)
	v_mul_f64 v[66:67], v[86:87], v[14:15]
	v_mul_f64 v[68:69], v[86:87], v[12:13]
	v_mov_b32_e32 v41, v34
	ds_load_b128 v[32:35], v252 offset:12672
	v_add_co_u32 v2, s0, s10, v0
	s_delay_alu instid0(VALU_DEP_1)
	v_add_co_ci_u32_e64 v3, s0, s11, v1, s0
	v_lshlrev_b64 v[0:1], 4, v[40:41]
	v_mul_f64 v[40:41], v[74:75], v[10:11]
	scratch_load_b128 v[74:77], off, off offset:340 ; 16-byte Folded Reload
	v_mul_f64 v[46:47], v[64:65], v[6:7]
	v_mul_f64 v[48:49], v[64:65], v[4:5]
	s_mul_i32 s0, s5, 0x63
	v_fma_f64 v[54:55], v[72:73], v[10:11], -v[54:55]
	s_add_i32 s7, s1, s0
	v_add_co_u32 v0, s0, v2, v0
	s_delay_alu instid0(VALU_DEP_1) | instskip(SKIP_2) | instid1(VALU_DEP_3)
	v_add_co_ci_u32_e64 v1, s0, v3, v1, s0
	s_lshl_b64 s[6:7], s[6:7], 4
	v_mul_f64 v[36:37], v[36:37], s[2:3]
	v_add_co_u32 v64, s0, v0, s6
	s_delay_alu instid0(VALU_DEP_1)
	v_add_co_ci_u32_e64 v65, s0, s7, v1, s0
	v_mul_f64 v[38:39], v[38:39], s[2:3]
	global_store_b128 v[0:1], v[20:23], off
	ds_load_b128 v[20:23], v252 offset:17424
	global_store_b128 v[64:65], v[24:27], off
	ds_load_b128 v[24:27], v252 offset:20592
	v_add_co_u32 v64, s0, v64, s6
	s_delay_alu instid0(VALU_DEP_1)
	v_add_co_ci_u32_e64 v65, s0, s7, v65, s0
	v_fma_f64 v[70:71], v[72:73], v[8:9], v[40:41]
	ds_load_b128 v[8:11], v252 offset:19008
	v_fma_f64 v[60:61], v[62:63], v[4:5], v[46:47]
	v_fma_f64 v[62:63], v[62:63], v[6:7], -v[48:49]
	s_waitcnt lgkmcnt(3)
	v_mul_f64 v[46:47], v[80:81], v[34:35]
	v_mul_f64 v[48:49], v[80:81], v[32:33]
	;; [unrolled: 1-line block ×3, first 2 shown]
	scratch_load_b128 v[80:83], off, off offset:292 ; 16-byte Folded Reload
	v_mul_f64 v[6:7], v[52:53], s[2:3]
	v_mul_f64 v[50:51], v[62:63], s[2:3]
	v_fma_f64 v[62:63], v[84:85], v[14:15], -v[68:69]
	global_store_b128 v[64:65], v[4:7], off
	v_add_co_u32 v6, s0, v64, s6
	s_delay_alu instid0(VALU_DEP_1) | instskip(SKIP_2) | instid1(VALU_DEP_1)
	v_add_co_ci_u32_e64 v7, s0, s7, v65, s0
	global_store_b128 v[6:7], v[36:39], off
	v_add_co_u32 v6, s0, v6, s6
	v_add_co_ci_u32_e64 v7, s0, s7, v7, s0
	s_delay_alu instid0(VALU_DEP_2) | instskip(NEXT) | instid1(VALU_DEP_1)
	v_add_co_u32 v36, s0, v6, s6
	v_add_co_ci_u32_e64 v37, s0, s7, v7, s0
	s_waitcnt vmcnt(1)
	v_mul_f64 v[42:43], v[76:77], v[30:31]
	v_mul_f64 v[44:45], v[76:77], v[28:29]
	v_fma_f64 v[76:77], v[78:79], v[32:33], v[46:47]
	v_fma_f64 v[78:79], v[78:79], v[34:35], -v[48:49]
	v_mul_f64 v[46:47], v[58:59], s[2:3]
	v_mul_f64 v[48:49], v[60:61], s[2:3]
	s_waitcnt lgkmcnt(2)
	v_mul_f64 v[58:59], v[92:93], v[20:21]
	v_fma_f64 v[60:61], v[84:85], v[12:13], v[66:67]
	scratch_load_b128 v[84:87], off, off offset:228 ; 16-byte Folded Reload
	ds_load_b128 v[32:35], v252 offset:25344
	v_fma_f64 v[72:73], v[74:75], v[28:29], v[42:43]
	v_fma_f64 v[74:75], v[74:75], v[30:31], -v[44:45]
	v_mul_f64 v[44:45], v[56:57], s[2:3]
	v_mul_f64 v[56:57], v[92:93], v[22:23]
	scratch_load_b128 v[92:95], off, off offset:276 ; 16-byte Folded Reload
	ds_load_b128 v[28:31], v252 offset:22176
	ds_load_b128 v[40:43], v252 offset:23760
	v_fma_f64 v[38:39], v[90:91], v[20:21], v[56:57]
	s_waitcnt vmcnt(1) lgkmcnt(3)
	v_mul_f64 v[12:13], v[86:87], v[10:11]
	v_mul_f64 v[14:15], v[86:87], v[8:9]
	scratch_load_b128 v[86:89], off, off offset:244 ; 16-byte Folded Reload
	v_mul_f64 v[0:1], v[82:83], v[18:19]
	v_mul_f64 v[52:53], v[82:83], v[16:17]
	s_waitcnt vmcnt(1)
	v_mul_f64 v[66:67], v[94:95], v[26:27]
	v_mul_f64 v[68:69], v[94:95], v[24:25]
	scratch_load_b128 v[94:97], off, off offset:372 ; 16-byte Folded Reload
	v_fma_f64 v[0:1], v[80:81], v[16:17], v[0:1]
	v_fma_f64 v[52:53], v[80:81], v[18:19], -v[52:53]
	v_fma_f64 v[56:57], v[92:93], v[26:27], -v[68:69]
	s_delay_alu instid0(VALU_DEP_3)
	v_mul_f64 v[20:21], v[0:1], s[2:3]
	s_waitcnt vmcnt(1) lgkmcnt(1)
	v_mul_f64 v[16:17], v[88:89], v[30:31]
	v_mul_f64 v[18:19], v[88:89], v[28:29]
	s_waitcnt vmcnt(0) lgkmcnt(0)
	v_mul_f64 v[80:81], v[96:97], v[42:43]
	v_mul_f64 v[82:83], v[96:97], v[40:41]
	scratch_load_b128 v[96:99], off, off offset:388 ; 16-byte Folded Reload
	global_store_b128 v[6:7], v[44:47], off
	global_store_b128 v[36:37], v[48:51], off
	v_fma_f64 v[44:45], v[90:91], v[22:23], -v[58:59]
	v_fma_f64 v[46:47], v[84:85], v[8:9], v[12:13]
	v_fma_f64 v[48:49], v[84:85], v[10:11], -v[14:15]
	v_fma_f64 v[50:51], v[92:93], v[24:25], v[66:67]
	v_fma_f64 v[58:59], v[86:87], v[28:29], v[16:17]
	v_fma_f64 v[66:67], v[86:87], v[30:31], -v[18:19]
	v_mul_f64 v[6:7], v[54:55], s[2:3]
	v_mul_f64 v[8:9], v[72:73], s[2:3]
	;; [unrolled: 1-line block ×3, first 2 shown]
	v_add_co_u32 v54, s0, v36, s6
	s_delay_alu instid0(VALU_DEP_1)
	v_add_co_ci_u32_e64 v55, s0, s7, v37, s0
	v_mul_f64 v[12:13], v[76:77], s[2:3]
	v_mul_f64 v[14:15], v[78:79], s[2:3]
	;; [unrolled: 1-line block ×6, first 2 shown]
	v_fma_f64 v[40:41], v[94:95], v[40:41], v[80:81]
	v_fma_f64 v[42:43], v[94:95], v[42:43], -v[82:83]
	v_mul_f64 v[26:27], v[44:45], s[2:3]
	v_mul_f64 v[28:29], v[46:47], s[2:3]
	;; [unrolled: 1-line block ×7, first 2 shown]
	s_waitcnt vmcnt(0)
	v_mul_f64 v[4:5], v[98:99], v[34:35]
	v_mul_f64 v[64:65], v[98:99], v[32:33]
	s_delay_alu instid0(VALU_DEP_2) | instskip(NEXT) | instid1(VALU_DEP_2)
	v_fma_f64 v[68:69], v[96:97], v[32:33], v[4:5]
	v_fma_f64 v[64:65], v[96:97], v[34:35], -v[64:65]
	v_mul_f64 v[4:5], v[70:71], s[2:3]
	v_add_co_u32 v70, s0, v54, s6
	s_delay_alu instid0(VALU_DEP_1) | instskip(SKIP_1) | instid1(VALU_DEP_3)
	v_add_co_ci_u32_e64 v71, s0, s7, v55, s0
	v_mul_f64 v[32:33], v[50:51], s[2:3]
	v_add_co_u32 v72, s0, v70, s6
	s_delay_alu instid0(VALU_DEP_1) | instskip(SKIP_1) | instid1(VALU_DEP_3)
	v_add_co_ci_u32_e64 v73, s0, s7, v71, s0
	v_mul_f64 v[34:35], v[56:57], s[2:3]
	v_add_co_u32 v0, s0, v72, s6
	s_delay_alu instid0(VALU_DEP_1) | instskip(NEXT) | instid1(VALU_DEP_2)
	v_add_co_ci_u32_e64 v1, s0, s7, v73, s0
	v_add_co_u32 v48, s0, v0, s6
	s_delay_alu instid0(VALU_DEP_1) | instskip(SKIP_4) | instid1(VALU_DEP_1)
	v_add_co_ci_u32_e64 v49, s0, s7, v1, s0
	v_mul_f64 v[44:45], v[68:69], s[2:3]
	v_mul_f64 v[46:47], v[64:65], s[2:3]
	global_store_b128 v[54:55], v[4:7], off
	v_add_co_u32 v4, s0, v48, s6
	v_add_co_ci_u32_e64 v5, s0, s7, v49, s0
	global_store_b128 v[70:71], v[8:11], off
	v_add_co_u32 v6, s0, v4, s6
	s_delay_alu instid0(VALU_DEP_1) | instskip(SKIP_2) | instid1(VALU_DEP_1)
	v_add_co_ci_u32_e64 v7, s0, s7, v5, s0
	global_store_b128 v[72:73], v[12:15], off
	v_add_co_u32 v8, s0, v6, s6
	v_add_co_ci_u32_e64 v9, s0, s7, v7, s0
	global_store_b128 v[0:1], v[16:19], off
	v_add_co_u32 v10, s0, v8, s6
	s_delay_alu instid0(VALU_DEP_1) | instskip(SKIP_2) | instid1(VALU_DEP_1)
	v_add_co_ci_u32_e64 v11, s0, s7, v9, s0
	global_store_b128 v[48:49], v[20:23], off
	v_add_co_u32 v12, s0, v10, s6
	v_add_co_ci_u32_e64 v13, s0, s7, v11, s0
	global_store_b128 v[4:5], v[24:27], off
	v_add_co_u32 v0, s0, v12, s6
	s_delay_alu instid0(VALU_DEP_1)
	v_add_co_ci_u32_e64 v1, s0, s7, v13, s0
	global_store_b128 v[6:7], v[28:31], off
	global_store_b128 v[8:9], v[32:35], off
	;; [unrolled: 1-line block ×5, first 2 shown]
	s_and_b32 exec_lo, exec_lo, vcc_lo
	s_cbranch_execz .LBB0_15
; %bb.14:
	scratch_load_b64 v[18:19], off, off offset:148 ; 8-byte Folded Reload
	s_mul_i32 s0, s5, 0xffffa030
	s_delay_alu instid0(SALU_CYCLE_1)
	s_sub_i32 s0, s0, s4
	s_waitcnt vmcnt(0)
	global_load_b128 v[4:7], v[18:19], off offset:816
	ds_load_b128 v[8:11], v252 offset:816
	ds_load_b128 v[12:15], v252 offset:2400
	s_waitcnt vmcnt(0) lgkmcnt(1)
	v_mul_f64 v[16:17], v[10:11], v[6:7]
	v_mul_f64 v[6:7], v[8:9], v[6:7]
	s_delay_alu instid0(VALU_DEP_2) | instskip(NEXT) | instid1(VALU_DEP_2)
	v_fma_f64 v[8:9], v[8:9], v[4:5], v[16:17]
	v_fma_f64 v[6:7], v[4:5], v[10:11], -v[6:7]
	s_delay_alu instid0(VALU_DEP_2) | instskip(NEXT) | instid1(VALU_DEP_2)
	v_mul_f64 v[4:5], v[8:9], s[2:3]
	v_mul_f64 v[6:7], v[6:7], s[2:3]
	v_mad_u64_u32 v[8:9], null, 0xffffa030, s4, v[0:1]
	s_delay_alu instid0(VALU_DEP_1)
	v_add_nc_u32_e32 v9, s0, v9
	global_store_b128 v[8:9], v[4:7], off
	global_load_b128 v[4:7], v[18:19], off offset:2400
	s_waitcnt vmcnt(0) lgkmcnt(0)
	v_mul_f64 v[0:1], v[14:15], v[6:7]
	v_mul_f64 v[6:7], v[12:13], v[6:7]
	s_delay_alu instid0(VALU_DEP_2) | instskip(NEXT) | instid1(VALU_DEP_2)
	v_fma_f64 v[0:1], v[12:13], v[4:5], v[0:1]
	v_fma_f64 v[6:7], v[4:5], v[14:15], -v[6:7]
	s_delay_alu instid0(VALU_DEP_2) | instskip(NEXT) | instid1(VALU_DEP_2)
	v_mul_f64 v[4:5], v[0:1], s[2:3]
	v_mul_f64 v[6:7], v[6:7], s[2:3]
	v_add_co_u32 v0, vcc_lo, v8, s6
	v_add_co_ci_u32_e32 v1, vcc_lo, s7, v9, vcc_lo
	global_store_b128 v[0:1], v[4:7], off
	global_load_b128 v[4:7], v[18:19], off offset:3984
	ds_load_b128 v[8:11], v252 offset:3984
	ds_load_b128 v[12:15], v252 offset:5568
	v_add_co_u32 v0, vcc_lo, v0, s6
	v_add_co_ci_u32_e32 v1, vcc_lo, s7, v1, vcc_lo
	s_waitcnt vmcnt(0) lgkmcnt(1)
	v_mul_f64 v[16:17], v[10:11], v[6:7]
	v_mul_f64 v[6:7], v[8:9], v[6:7]
	s_delay_alu instid0(VALU_DEP_2) | instskip(NEXT) | instid1(VALU_DEP_2)
	v_fma_f64 v[8:9], v[8:9], v[4:5], v[16:17]
	v_fma_f64 v[6:7], v[4:5], v[10:11], -v[6:7]
	scratch_load_b64 v[10:11], off, off offset:164 ; 8-byte Folded Reload
	v_mul_f64 v[4:5], v[8:9], s[2:3]
	v_mul_f64 v[6:7], v[6:7], s[2:3]
	global_store_b128 v[0:1], v[4:7], off
	v_add_co_u32 v0, vcc_lo, v0, s6
	v_add_co_ci_u32_e32 v1, vcc_lo, s7, v1, vcc_lo
	s_waitcnt vmcnt(0)
	global_load_b128 v[4:7], v[10:11], off offset:1472
	s_waitcnt vmcnt(0) lgkmcnt(0)
	v_mul_f64 v[8:9], v[14:15], v[6:7]
	v_mul_f64 v[6:7], v[12:13], v[6:7]
	s_delay_alu instid0(VALU_DEP_2) | instskip(NEXT) | instid1(VALU_DEP_2)
	v_fma_f64 v[8:9], v[12:13], v[4:5], v[8:9]
	v_fma_f64 v[6:7], v[4:5], v[14:15], -v[6:7]
	s_delay_alu instid0(VALU_DEP_2) | instskip(NEXT) | instid1(VALU_DEP_2)
	v_mul_f64 v[4:5], v[8:9], s[2:3]
	v_mul_f64 v[6:7], v[6:7], s[2:3]
	global_store_b128 v[0:1], v[4:7], off
	global_load_b128 v[4:7], v[10:11], off offset:3056
	ds_load_b128 v[8:11], v252 offset:7152
	ds_load_b128 v[12:15], v252 offset:8736
	scratch_load_b64 v[18:19], off, off offset:156 ; 8-byte Folded Reload
	v_add_co_u32 v0, vcc_lo, v0, s6
	v_add_co_ci_u32_e32 v1, vcc_lo, s7, v1, vcc_lo
	s_waitcnt vmcnt(1) lgkmcnt(1)
	v_mul_f64 v[16:17], v[10:11], v[6:7]
	v_mul_f64 v[6:7], v[8:9], v[6:7]
	s_delay_alu instid0(VALU_DEP_2) | instskip(NEXT) | instid1(VALU_DEP_2)
	v_fma_f64 v[8:9], v[8:9], v[4:5], v[16:17]
	v_fma_f64 v[6:7], v[4:5], v[10:11], -v[6:7]
	s_delay_alu instid0(VALU_DEP_2) | instskip(NEXT) | instid1(VALU_DEP_2)
	v_mul_f64 v[4:5], v[8:9], s[2:3]
	v_mul_f64 v[6:7], v[6:7], s[2:3]
	global_store_b128 v[0:1], v[4:7], off
	s_waitcnt vmcnt(0)
	global_load_b128 v[4:7], v[18:19], off offset:544
	v_add_co_u32 v0, vcc_lo, v0, s6
	v_add_co_ci_u32_e32 v1, vcc_lo, s7, v1, vcc_lo
	s_waitcnt vmcnt(0) lgkmcnt(0)
	v_mul_f64 v[8:9], v[14:15], v[6:7]
	v_mul_f64 v[6:7], v[12:13], v[6:7]
	s_delay_alu instid0(VALU_DEP_2) | instskip(NEXT) | instid1(VALU_DEP_2)
	v_fma_f64 v[8:9], v[12:13], v[4:5], v[8:9]
	v_fma_f64 v[6:7], v[4:5], v[14:15], -v[6:7]
	s_delay_alu instid0(VALU_DEP_2) | instskip(NEXT) | instid1(VALU_DEP_2)
	v_mul_f64 v[4:5], v[8:9], s[2:3]
	v_mul_f64 v[6:7], v[6:7], s[2:3]
	global_store_b128 v[0:1], v[4:7], off
	global_load_b128 v[4:7], v[18:19], off offset:2128
	ds_load_b128 v[8:11], v252 offset:10320
	ds_load_b128 v[12:15], v252 offset:11904
	v_add_co_u32 v0, vcc_lo, v0, s6
	v_add_co_ci_u32_e32 v1, vcc_lo, s7, v1, vcc_lo
	s_waitcnt vmcnt(0) lgkmcnt(1)
	v_mul_f64 v[16:17], v[10:11], v[6:7]
	v_mul_f64 v[6:7], v[8:9], v[6:7]
	s_delay_alu instid0(VALU_DEP_2) | instskip(NEXT) | instid1(VALU_DEP_2)
	v_fma_f64 v[8:9], v[8:9], v[4:5], v[16:17]
	v_fma_f64 v[6:7], v[4:5], v[10:11], -v[6:7]
	s_delay_alu instid0(VALU_DEP_2) | instskip(NEXT) | instid1(VALU_DEP_2)
	v_mul_f64 v[4:5], v[8:9], s[2:3]
	v_mul_f64 v[6:7], v[6:7], s[2:3]
	global_store_b128 v[0:1], v[4:7], off
	global_load_b128 v[4:7], v[18:19], off offset:3712
	scratch_load_b64 v[18:19], off, off offset:140 ; 8-byte Folded Reload
	v_add_co_u32 v0, vcc_lo, v0, s6
	v_add_co_ci_u32_e32 v1, vcc_lo, s7, v1, vcc_lo
	s_waitcnt vmcnt(1) lgkmcnt(0)
	v_mul_f64 v[8:9], v[14:15], v[6:7]
	v_mul_f64 v[6:7], v[12:13], v[6:7]
	s_delay_alu instid0(VALU_DEP_2) | instskip(NEXT) | instid1(VALU_DEP_2)
	v_fma_f64 v[8:9], v[12:13], v[4:5], v[8:9]
	v_fma_f64 v[6:7], v[4:5], v[14:15], -v[6:7]
	s_delay_alu instid0(VALU_DEP_2) | instskip(NEXT) | instid1(VALU_DEP_2)
	v_mul_f64 v[4:5], v[8:9], s[2:3]
	v_mul_f64 v[6:7], v[6:7], s[2:3]
	global_store_b128 v[0:1], v[4:7], off
	s_waitcnt vmcnt(0)
	global_load_b128 v[4:7], v[18:19], off offset:1200
	ds_load_b128 v[8:11], v252 offset:13488
	ds_load_b128 v[12:15], v252 offset:15072
	v_add_co_u32 v0, vcc_lo, v0, s6
	v_add_co_ci_u32_e32 v1, vcc_lo, s7, v1, vcc_lo
	s_waitcnt vmcnt(0) lgkmcnt(1)
	v_mul_f64 v[16:17], v[10:11], v[6:7]
	v_mul_f64 v[6:7], v[8:9], v[6:7]
	s_delay_alu instid0(VALU_DEP_2) | instskip(NEXT) | instid1(VALU_DEP_2)
	v_fma_f64 v[8:9], v[8:9], v[4:5], v[16:17]
	v_fma_f64 v[6:7], v[4:5], v[10:11], -v[6:7]
	s_delay_alu instid0(VALU_DEP_2) | instskip(NEXT) | instid1(VALU_DEP_2)
	v_mul_f64 v[4:5], v[8:9], s[2:3]
	v_mul_f64 v[6:7], v[6:7], s[2:3]
	global_store_b128 v[0:1], v[4:7], off
	global_load_b128 v[4:7], v[18:19], off offset:2784
	scratch_load_b64 v[18:19], off, off offset:132 ; 8-byte Folded Reload
	v_add_co_u32 v0, vcc_lo, v0, s6
	v_add_co_ci_u32_e32 v1, vcc_lo, s7, v1, vcc_lo
	s_waitcnt vmcnt(1) lgkmcnt(0)
	v_mul_f64 v[8:9], v[14:15], v[6:7]
	v_mul_f64 v[6:7], v[12:13], v[6:7]
	s_delay_alu instid0(VALU_DEP_2) | instskip(NEXT) | instid1(VALU_DEP_2)
	v_fma_f64 v[8:9], v[12:13], v[4:5], v[8:9]
	v_fma_f64 v[6:7], v[4:5], v[14:15], -v[6:7]
	s_delay_alu instid0(VALU_DEP_2) | instskip(NEXT) | instid1(VALU_DEP_2)
	v_mul_f64 v[4:5], v[8:9], s[2:3]
	v_mul_f64 v[6:7], v[6:7], s[2:3]
	global_store_b128 v[0:1], v[4:7], off
	s_waitcnt vmcnt(0)
	global_load_b128 v[4:7], v[18:19], off offset:272
	ds_load_b128 v[8:11], v252 offset:16656
	ds_load_b128 v[12:15], v252 offset:18240
	v_add_co_u32 v0, vcc_lo, v0, s6
	v_add_co_ci_u32_e32 v1, vcc_lo, s7, v1, vcc_lo
	s_waitcnt vmcnt(0) lgkmcnt(1)
	v_mul_f64 v[16:17], v[10:11], v[6:7]
	v_mul_f64 v[6:7], v[8:9], v[6:7]
	s_delay_alu instid0(VALU_DEP_2) | instskip(NEXT) | instid1(VALU_DEP_2)
	v_fma_f64 v[8:9], v[8:9], v[4:5], v[16:17]
	v_fma_f64 v[6:7], v[4:5], v[10:11], -v[6:7]
	s_delay_alu instid0(VALU_DEP_2) | instskip(NEXT) | instid1(VALU_DEP_2)
	v_mul_f64 v[4:5], v[8:9], s[2:3]
	v_mul_f64 v[6:7], v[6:7], s[2:3]
	global_store_b128 v[0:1], v[4:7], off
	global_load_b128 v[4:7], v[18:19], off offset:1856
	v_add_co_u32 v0, vcc_lo, v0, s6
	v_add_co_ci_u32_e32 v1, vcc_lo, s7, v1, vcc_lo
	s_waitcnt vmcnt(0) lgkmcnt(0)
	v_mul_f64 v[8:9], v[14:15], v[6:7]
	v_mul_f64 v[6:7], v[12:13], v[6:7]
	s_delay_alu instid0(VALU_DEP_2) | instskip(NEXT) | instid1(VALU_DEP_2)
	v_fma_f64 v[8:9], v[12:13], v[4:5], v[8:9]
	v_fma_f64 v[6:7], v[4:5], v[14:15], -v[6:7]
	s_delay_alu instid0(VALU_DEP_2) | instskip(NEXT) | instid1(VALU_DEP_2)
	v_mul_f64 v[4:5], v[8:9], s[2:3]
	v_mul_f64 v[6:7], v[6:7], s[2:3]
	global_store_b128 v[0:1], v[4:7], off
	global_load_b128 v[4:7], v[18:19], off offset:3440
	ds_load_b128 v[8:11], v252 offset:19824
	ds_load_b128 v[12:15], v252 offset:21408
	v_add_co_u32 v0, vcc_lo, v0, s6
	v_add_co_ci_u32_e32 v1, vcc_lo, s7, v1, vcc_lo
	s_waitcnt vmcnt(0) lgkmcnt(1)
	v_mul_f64 v[16:17], v[10:11], v[6:7]
	v_mul_f64 v[6:7], v[8:9], v[6:7]
	s_delay_alu instid0(VALU_DEP_2) | instskip(NEXT) | instid1(VALU_DEP_2)
	v_fma_f64 v[8:9], v[8:9], v[4:5], v[16:17]
	v_fma_f64 v[6:7], v[4:5], v[10:11], -v[6:7]
	scratch_load_b64 v[10:11], off, off offset:124 ; 8-byte Folded Reload
	v_mul_f64 v[4:5], v[8:9], s[2:3]
	v_mul_f64 v[6:7], v[6:7], s[2:3]
	global_store_b128 v[0:1], v[4:7], off
	v_add_co_u32 v0, vcc_lo, v0, s6
	v_add_co_ci_u32_e32 v1, vcc_lo, s7, v1, vcc_lo
	s_waitcnt vmcnt(0)
	global_load_b128 v[4:7], v[10:11], off offset:928
	s_waitcnt vmcnt(0) lgkmcnt(0)
	v_mul_f64 v[8:9], v[14:15], v[6:7]
	v_mul_f64 v[6:7], v[12:13], v[6:7]
	s_delay_alu instid0(VALU_DEP_2) | instskip(NEXT) | instid1(VALU_DEP_2)
	v_fma_f64 v[8:9], v[12:13], v[4:5], v[8:9]
	v_fma_f64 v[6:7], v[4:5], v[14:15], -v[6:7]
	s_delay_alu instid0(VALU_DEP_2) | instskip(NEXT) | instid1(VALU_DEP_2)
	v_mul_f64 v[4:5], v[8:9], s[2:3]
	v_mul_f64 v[6:7], v[6:7], s[2:3]
	global_store_b128 v[0:1], v[4:7], off
	global_load_b128 v[4:7], v[10:11], off offset:2512
	ds_load_b128 v[8:11], v252 offset:22992
	ds_load_b128 v[12:15], v252 offset:24576
	s_waitcnt vmcnt(0) lgkmcnt(1)
	v_mul_f64 v[16:17], v[10:11], v[6:7]
	v_mul_f64 v[6:7], v[8:9], v[6:7]
	s_delay_alu instid0(VALU_DEP_2) | instskip(SKIP_4) | instid1(VALU_DEP_3)
	v_fma_f64 v[8:9], v[8:9], v[4:5], v[16:17]
	scratch_load_b32 v16, off, off offset:1748 ; 4-byte Folded Reload
	v_fma_f64 v[6:7], v[4:5], v[10:11], -v[6:7]
	v_mul_f64 v[4:5], v[8:9], s[2:3]
	v_add_co_u32 v8, vcc_lo, v0, s6
	v_mul_f64 v[6:7], v[6:7], s[2:3]
	v_add_co_ci_u32_e32 v9, vcc_lo, s7, v1, vcc_lo
	global_store_b128 v[8:9], v[4:7], off
	s_waitcnt vmcnt(0)
	v_lshlrev_b32_e32 v0, 4, v16
	v_mad_u64_u32 v[10:11], null, s4, v16, 0
	global_load_b128 v[4:7], v0, s[12:13]
	s_waitcnt vmcnt(0) lgkmcnt(0)
	v_mul_f64 v[0:1], v[14:15], v[6:7]
	v_mul_f64 v[6:7], v[12:13], v[6:7]
	s_delay_alu instid0(VALU_DEP_2) | instskip(NEXT) | instid1(VALU_DEP_2)
	v_fma_f64 v[0:1], v[12:13], v[4:5], v[0:1]
	v_fma_f64 v[6:7], v[4:5], v[14:15], -v[6:7]
	s_delay_alu instid0(VALU_DEP_2) | instskip(NEXT) | instid1(VALU_DEP_2)
	v_mul_f64 v[4:5], v[0:1], s[2:3]
	v_mul_f64 v[6:7], v[6:7], s[2:3]
	v_mov_b32_e32 v0, v11
	s_delay_alu instid0(VALU_DEP_1) | instskip(NEXT) | instid1(VALU_DEP_1)
	v_mad_u64_u32 v[11:12], null, s5, v16, v[0:1]
	v_lshlrev_b64 v[0:1], 4, v[10:11]
	s_delay_alu instid0(VALU_DEP_1) | instskip(NEXT) | instid1(VALU_DEP_2)
	v_add_co_u32 v0, vcc_lo, v2, v0
	v_add_co_ci_u32_e32 v1, vcc_lo, v3, v1, vcc_lo
	global_store_b128 v[0:1], v[4:7], off
	scratch_load_b64 v[0:1], off, off offset:116 ; 8-byte Folded Reload
	ds_load_b128 v[4:7], v252 offset:26160
	s_waitcnt vmcnt(0)
	global_load_b128 v[0:3], v[0:1], off offset:1584
	s_waitcnt vmcnt(0) lgkmcnt(0)
	v_mul_f64 v[10:11], v[6:7], v[2:3]
	v_mul_f64 v[2:3], v[4:5], v[2:3]
	s_delay_alu instid0(VALU_DEP_2) | instskip(NEXT) | instid1(VALU_DEP_2)
	v_fma_f64 v[4:5], v[4:5], v[0:1], v[10:11]
	v_fma_f64 v[2:3], v[0:1], v[6:7], -v[2:3]
	s_delay_alu instid0(VALU_DEP_2) | instskip(NEXT) | instid1(VALU_DEP_2)
	v_mul_f64 v[0:1], v[4:5], s[2:3]
	v_mul_f64 v[2:3], v[2:3], s[2:3]
	v_mad_u64_u32 v[4:5], null, 0xc60, s4, v[8:9]
	s_delay_alu instid0(VALU_DEP_1) | instskip(NEXT) | instid1(VALU_DEP_1)
	v_mad_u64_u32 v[6:7], null, 0xc60, s5, v[5:6]
	v_mov_b32_e32 v5, v6
	global_store_b128 v[4:5], v[0:3], off
.LBB0_15:
	s_nop 0
	s_sendmsg sendmsg(MSG_DEALLOC_VGPRS)
	s_endpgm
	.section	.rodata,"a",@progbits
	.p2align	6, 0x0
	.amdhsa_kernel bluestein_single_back_len1683_dim1_dp_op_CI_CI
		.amdhsa_group_segment_fixed_size 26928
		.amdhsa_private_segment_fixed_size 1760
		.amdhsa_kernarg_size 104
		.amdhsa_user_sgpr_count 15
		.amdhsa_user_sgpr_dispatch_ptr 0
		.amdhsa_user_sgpr_queue_ptr 0
		.amdhsa_user_sgpr_kernarg_segment_ptr 1
		.amdhsa_user_sgpr_dispatch_id 0
		.amdhsa_user_sgpr_private_segment_size 0
		.amdhsa_wavefront_size32 1
		.amdhsa_uses_dynamic_stack 0
		.amdhsa_enable_private_segment 1
		.amdhsa_system_sgpr_workgroup_id_x 1
		.amdhsa_system_sgpr_workgroup_id_y 0
		.amdhsa_system_sgpr_workgroup_id_z 0
		.amdhsa_system_sgpr_workgroup_info 0
		.amdhsa_system_vgpr_workitem_id 0
		.amdhsa_next_free_vgpr 256
		.amdhsa_next_free_sgpr 60
		.amdhsa_reserve_vcc 1
		.amdhsa_float_round_mode_32 0
		.amdhsa_float_round_mode_16_64 0
		.amdhsa_float_denorm_mode_32 3
		.amdhsa_float_denorm_mode_16_64 3
		.amdhsa_dx10_clamp 1
		.amdhsa_ieee_mode 1
		.amdhsa_fp16_overflow 0
		.amdhsa_workgroup_processor_mode 1
		.amdhsa_memory_ordered 1
		.amdhsa_forward_progress 0
		.amdhsa_shared_vgpr_count 0
		.amdhsa_exception_fp_ieee_invalid_op 0
		.amdhsa_exception_fp_denorm_src 0
		.amdhsa_exception_fp_ieee_div_zero 0
		.amdhsa_exception_fp_ieee_overflow 0
		.amdhsa_exception_fp_ieee_underflow 0
		.amdhsa_exception_fp_ieee_inexact 0
		.amdhsa_exception_int_div_zero 0
	.end_amdhsa_kernel
	.text
.Lfunc_end0:
	.size	bluestein_single_back_len1683_dim1_dp_op_CI_CI, .Lfunc_end0-bluestein_single_back_len1683_dim1_dp_op_CI_CI
                                        ; -- End function
	.section	.AMDGPU.csdata,"",@progbits
; Kernel info:
; codeLenInByte = 70236
; NumSgprs: 62
; NumVgprs: 256
; ScratchSize: 1760
; MemoryBound: 0
; FloatMode: 240
; IeeeMode: 1
; LDSByteSize: 26928 bytes/workgroup (compile time only)
; SGPRBlocks: 7
; VGPRBlocks: 31
; NumSGPRsForWavesPerEU: 62
; NumVGPRsForWavesPerEU: 256
; Occupancy: 2
; WaveLimiterHint : 1
; COMPUTE_PGM_RSRC2:SCRATCH_EN: 1
; COMPUTE_PGM_RSRC2:USER_SGPR: 15
; COMPUTE_PGM_RSRC2:TRAP_HANDLER: 0
; COMPUTE_PGM_RSRC2:TGID_X_EN: 1
; COMPUTE_PGM_RSRC2:TGID_Y_EN: 0
; COMPUTE_PGM_RSRC2:TGID_Z_EN: 0
; COMPUTE_PGM_RSRC2:TIDIG_COMP_CNT: 0
	.text
	.p2alignl 7, 3214868480
	.fill 96, 4, 3214868480
	.type	__hip_cuid_432f8da1ec13b584,@object ; @__hip_cuid_432f8da1ec13b584
	.section	.bss,"aw",@nobits
	.globl	__hip_cuid_432f8da1ec13b584
__hip_cuid_432f8da1ec13b584:
	.byte	0                               ; 0x0
	.size	__hip_cuid_432f8da1ec13b584, 1

	.ident	"AMD clang version 19.0.0git (https://github.com/RadeonOpenCompute/llvm-project roc-6.4.0 25133 c7fe45cf4b819c5991fe208aaa96edf142730f1d)"
	.section	".note.GNU-stack","",@progbits
	.addrsig
	.addrsig_sym __hip_cuid_432f8da1ec13b584
	.amdgpu_metadata
---
amdhsa.kernels:
  - .args:
      - .actual_access:  read_only
        .address_space:  global
        .offset:         0
        .size:           8
        .value_kind:     global_buffer
      - .actual_access:  read_only
        .address_space:  global
        .offset:         8
        .size:           8
        .value_kind:     global_buffer
      - .actual_access:  read_only
        .address_space:  global
        .offset:         16
        .size:           8
        .value_kind:     global_buffer
      - .actual_access:  read_only
        .address_space:  global
        .offset:         24
        .size:           8
        .value_kind:     global_buffer
      - .actual_access:  read_only
        .address_space:  global
        .offset:         32
        .size:           8
        .value_kind:     global_buffer
      - .offset:         40
        .size:           8
        .value_kind:     by_value
      - .address_space:  global
        .offset:         48
        .size:           8
        .value_kind:     global_buffer
      - .address_space:  global
        .offset:         56
        .size:           8
        .value_kind:     global_buffer
      - .address_space:  global
        .offset:         64
        .size:           8
        .value_kind:     global_buffer
      - .address_space:  global
        .offset:         72
        .size:           8
        .value_kind:     global_buffer
      - .offset:         80
        .size:           4
        .value_kind:     by_value
      - .address_space:  global
        .offset:         88
        .size:           8
        .value_kind:     global_buffer
      - .address_space:  global
        .offset:         96
        .size:           8
        .value_kind:     global_buffer
    .group_segment_fixed_size: 26928
    .kernarg_segment_align: 8
    .kernarg_segment_size: 104
    .language:       OpenCL C
    .language_version:
      - 2
      - 0
    .max_flat_workgroup_size: 51
    .name:           bluestein_single_back_len1683_dim1_dp_op_CI_CI
    .private_segment_fixed_size: 1760
    .sgpr_count:     62
    .sgpr_spill_count: 0
    .symbol:         bluestein_single_back_len1683_dim1_dp_op_CI_CI.kd
    .uniform_work_group_size: 1
    .uses_dynamic_stack: false
    .vgpr_count:     256
    .vgpr_spill_count: 563
    .wavefront_size: 32
    .workgroup_processor_mode: 1
amdhsa.target:   amdgcn-amd-amdhsa--gfx1100
amdhsa.version:
  - 1
  - 2
...

	.end_amdgpu_metadata
